;; amdgpu-corpus repo=zjin-lcf/HeCBench kind=compiled arch=gfx950 opt=O3
	.amdgcn_target "amdgcn-amd-amdhsa--gfx950"
	.amdhsa_code_object_version 6
	.text
	.protected	_Z9ccc_loop1PKiS0_PKdS2_S2_S2_PdiiPi ; -- Begin function _Z9ccc_loop1PKiS0_PKdS2_S2_S2_PdiiPi
	.globl	_Z9ccc_loop1PKiS0_PKdS2_S2_S2_PdiiPi
	.p2align	8
	.type	_Z9ccc_loop1PKiS0_PKdS2_S2_S2_PdiiPi,@function
_Z9ccc_loop1PKiS0_PKdS2_S2_S2_PdiiPi:   ; @_Z9ccc_loop1PKiS0_PKdS2_S2_S2_PdiiPi
; %bb.0:
	s_load_dword s6, s[0:1], 0x54
	s_load_dwordx2 s[4:5], s[0:1], 0x38
	v_and_b32_e32 v1, 0x3ff, v0
	v_bfe_u32 v0, v0, 10, 10
	s_waitcnt lgkmcnt(0)
	s_lshr_b32 s7, s6, 16
	s_and_b32 s6, s6, 0xffff
	s_mul_i32 s2, s2, s6
	s_mul_i32 s3, s3, s7
	v_add_u32_e32 v2, s2, v1
	v_add_u32_e32 v0, s3, v0
	v_cmp_gt_i32_e32 vcc, s4, v2
	v_cmp_gt_i32_e64 s[2:3], s5, v0
	s_and_b64 s[2:3], vcc, s[2:3]
	s_and_saveexec_b64 s[6:7], s[2:3]
	s_cbranch_execz .LBB0_2
; %bb.1:
	s_load_dwordx2 s[2:3], s[0:1], 0x10
	s_load_dwordx4 s[8:11], s[0:1], 0x28
	v_mad_u64_u32 v[0:1], s[0:1], v0, s4, v[2:3]
	v_ashrrev_i32_e32 v1, 31, v0
	v_lshlrev_b64 v[0:1], 3, v[0:1]
	s_waitcnt lgkmcnt(0)
	v_lshl_add_u64 v[2:3], s[2:3], 0, v[0:1]
	v_lshl_add_u64 v[4:5], s[8:9], 0, v[0:1]
	global_load_dwordx2 v[2:3], v[2:3], off
	v_lshl_add_u64 v[0:1], s[10:11], 0, v[0:1]
	global_load_dwordx2 v[4:5], v[4:5], off
	s_waitcnt vmcnt(0)
	v_div_scale_f64 v[6:7], s[0:1], v[4:5], v[4:5], v[2:3]
	v_rcp_f64_e32 v[8:9], v[6:7]
	v_div_scale_f64 v[10:11], vcc, v[2:3], v[4:5], v[2:3]
	v_fma_f64 v[12:13], -v[6:7], v[8:9], 1.0
	v_fmac_f64_e32 v[8:9], v[8:9], v[12:13]
	v_fma_f64 v[12:13], -v[6:7], v[8:9], 1.0
	v_fmac_f64_e32 v[8:9], v[8:9], v[12:13]
	v_mul_f64 v[12:13], v[10:11], v[8:9]
	v_fma_f64 v[6:7], -v[6:7], v[12:13], v[10:11]
	v_div_fmas_f64 v[6:7], v[6:7], v[8:9], v[12:13]
	v_div_fixup_f64 v[2:3], v[6:7], v[4:5], v[2:3]
	global_store_dwordx2 v[0:1], v[2:3], off
.LBB0_2:
	s_endpgm
	.section	.rodata,"a",@progbits
	.p2align	6, 0x0
	.amdhsa_kernel _Z9ccc_loop1PKiS0_PKdS2_S2_S2_PdiiPi
		.amdhsa_group_segment_fixed_size 0
		.amdhsa_private_segment_fixed_size 0
		.amdhsa_kernarg_size 328
		.amdhsa_user_sgpr_count 2
		.amdhsa_user_sgpr_dispatch_ptr 0
		.amdhsa_user_sgpr_queue_ptr 0
		.amdhsa_user_sgpr_kernarg_segment_ptr 1
		.amdhsa_user_sgpr_dispatch_id 0
		.amdhsa_user_sgpr_kernarg_preload_length 0
		.amdhsa_user_sgpr_kernarg_preload_offset 0
		.amdhsa_user_sgpr_private_segment_size 0
		.amdhsa_uses_dynamic_stack 0
		.amdhsa_enable_private_segment 0
		.amdhsa_system_sgpr_workgroup_id_x 1
		.amdhsa_system_sgpr_workgroup_id_y 1
		.amdhsa_system_sgpr_workgroup_id_z 0
		.amdhsa_system_sgpr_workgroup_info 0
		.amdhsa_system_vgpr_workitem_id 1
		.amdhsa_next_free_vgpr 14
		.amdhsa_next_free_sgpr 12
		.amdhsa_accum_offset 16
		.amdhsa_reserve_vcc 1
		.amdhsa_float_round_mode_32 0
		.amdhsa_float_round_mode_16_64 0
		.amdhsa_float_denorm_mode_32 3
		.amdhsa_float_denorm_mode_16_64 3
		.amdhsa_dx10_clamp 1
		.amdhsa_ieee_mode 1
		.amdhsa_fp16_overflow 0
		.amdhsa_tg_split 0
		.amdhsa_exception_fp_ieee_invalid_op 0
		.amdhsa_exception_fp_denorm_src 0
		.amdhsa_exception_fp_ieee_div_zero 0
		.amdhsa_exception_fp_ieee_overflow 0
		.amdhsa_exception_fp_ieee_underflow 0
		.amdhsa_exception_fp_ieee_inexact 0
		.amdhsa_exception_int_div_zero 0
	.end_amdhsa_kernel
	.text
.Lfunc_end0:
	.size	_Z9ccc_loop1PKiS0_PKdS2_S2_S2_PdiiPi, .Lfunc_end0-_Z9ccc_loop1PKiS0_PKdS2_S2_S2_PdiiPi
                                        ; -- End function
	.set _Z9ccc_loop1PKiS0_PKdS2_S2_S2_PdiiPi.num_vgpr, 14
	.set _Z9ccc_loop1PKiS0_PKdS2_S2_S2_PdiiPi.num_agpr, 0
	.set _Z9ccc_loop1PKiS0_PKdS2_S2_S2_PdiiPi.numbered_sgpr, 12
	.set _Z9ccc_loop1PKiS0_PKdS2_S2_S2_PdiiPi.num_named_barrier, 0
	.set _Z9ccc_loop1PKiS0_PKdS2_S2_S2_PdiiPi.private_seg_size, 0
	.set _Z9ccc_loop1PKiS0_PKdS2_S2_S2_PdiiPi.uses_vcc, 1
	.set _Z9ccc_loop1PKiS0_PKdS2_S2_S2_PdiiPi.uses_flat_scratch, 0
	.set _Z9ccc_loop1PKiS0_PKdS2_S2_S2_PdiiPi.has_dyn_sized_stack, 0
	.set _Z9ccc_loop1PKiS0_PKdS2_S2_S2_PdiiPi.has_recursion, 0
	.set _Z9ccc_loop1PKiS0_PKdS2_S2_S2_PdiiPi.has_indirect_call, 0
	.section	.AMDGPU.csdata,"",@progbits
; Kernel info:
; codeLenInByte = 260
; TotalNumSgprs: 18
; NumVgprs: 14
; NumAgprs: 0
; TotalNumVgprs: 14
; ScratchSize: 0
; MemoryBound: 0
; FloatMode: 240
; IeeeMode: 1
; LDSByteSize: 0 bytes/workgroup (compile time only)
; SGPRBlocks: 2
; VGPRBlocks: 1
; NumSGPRsForWavesPerEU: 18
; NumVGPRsForWavesPerEU: 14
; AccumOffset: 16
; Occupancy: 8
; WaveLimiterHint : 0
; COMPUTE_PGM_RSRC2:SCRATCH_EN: 0
; COMPUTE_PGM_RSRC2:USER_SGPR: 2
; COMPUTE_PGM_RSRC2:TRAP_HANDLER: 0
; COMPUTE_PGM_RSRC2:TGID_X_EN: 1
; COMPUTE_PGM_RSRC2:TGID_Y_EN: 1
; COMPUTE_PGM_RSRC2:TGID_Z_EN: 0
; COMPUTE_PGM_RSRC2:TIDIG_COMP_CNT: 1
; COMPUTE_PGM_RSRC3_GFX90A:ACCUM_OFFSET: 3
; COMPUTE_PGM_RSRC3_GFX90A:TG_SPLIT: 0
	.text
	.protected	_Z11ccc_loop1_2PKdS0_S0_PdPKiiS3_S3_ii ; -- Begin function _Z11ccc_loop1_2PKdS0_S0_PdPKiiS3_S3_ii
	.globl	_Z11ccc_loop1_2PKdS0_S0_PdPKiiS3_S3_ii
	.p2align	8
	.type	_Z11ccc_loop1_2PKdS0_S0_PdPKiiS3_S3_ii,@function
_Z11ccc_loop1_2PKdS0_S0_PdPKiiS3_S3_ii: ; @_Z11ccc_loop1_2PKdS0_S0_PdPKiiS3_S3_ii
; %bb.0:
	s_load_dword s3, s[0:1], 0x54
	s_load_dword s4, s[0:1], 0x28
	s_waitcnt lgkmcnt(0)
	s_and_b32 s3, s3, 0xffff
	s_mul_i32 s2, s2, s3
	v_add_u32_e32 v2, s2, v0
	v_cmp_gt_i32_e32 vcc, s4, v2
	s_and_saveexec_b64 s[2:3], vcc
	s_cbranch_execz .LBB1_6
; %bb.1:
	s_load_dwordx2 s[2:3], s[0:1], 0x20
	v_ashrrev_i32_e32 v3, 31, v2
	s_waitcnt lgkmcnt(0)
	v_lshl_add_u64 v[0:1], v[2:3], 2, s[2:3]
	global_load_dwordx2 v[4:5], v[0:1], off
	v_mov_b64_e32 v[0:1], 0
	s_waitcnt vmcnt(0)
	v_cmp_lt_i32_e32 vcc, v4, v5
	s_and_saveexec_b64 s[2:3], vcc
	s_cbranch_execz .LBB1_5
; %bb.2:
	s_load_dwordx4 s[4:7], s[0:1], 0x0
	v_ashrrev_i32_e32 v1, 31, v4
	v_mov_b32_e32 v0, v4
	v_lshlrev_b64 v[0:1], 3, v[0:1]
	s_waitcnt lgkmcnt(0)
	v_lshl_add_u64 v[6:7], s[4:5], 0, v[0:1]
	v_lshl_add_u64 v[8:9], s[6:7], 0, v[0:1]
	v_mov_b64_e32 v[0:1], 0
	s_mov_b64 s[4:5], 0
.LBB1_3:                                ; =>This Inner Loop Header: Depth=1
	global_load_dwordx2 v[10:11], v[6:7], off
	global_load_dwordx2 v[12:13], v[8:9], off
	v_add_u32_e32 v4, 1, v4
	v_cmp_ge_i32_e32 vcc, v4, v5
	v_lshl_add_u64 v[6:7], v[6:7], 0, 8
	v_lshl_add_u64 v[8:9], v[8:9], 0, 8
	s_or_b64 s[4:5], vcc, s[4:5]
	s_waitcnt vmcnt(0)
	v_fmac_f64_e32 v[0:1], v[10:11], v[12:13]
	s_andn2_b64 exec, exec, s[4:5]
	s_cbranch_execnz .LBB1_3
; %bb.4:
	s_or_b64 exec, exec, s[4:5]
.LBB1_5:
	s_or_b64 exec, exec, s[2:3]
	s_load_dwordx4 s[4:7], s[0:1], 0x10
	s_load_dwordx4 s[8:11], s[0:1], 0x30
	v_lshlrev_b64 v[2:3], 2, v[2:3]
	s_load_dword s0, s[0:1], 0x40
	s_waitcnt lgkmcnt(0)
	v_lshl_add_u64 v[4:5], s[8:9], 0, v[2:3]
	v_lshl_add_u64 v[2:3], s[10:11], 0, v[2:3]
	global_load_dword v4, v[4:5], off
	s_nop 0
	global_load_dword v2, v[2:3], off
	s_waitcnt vmcnt(0)
	v_mad_u64_u32 v[2:3], s[0:1], v2, s0, v[4:5]
	v_ashrrev_i32_e32 v3, 31, v2
	v_lshlrev_b64 v[2:3], 3, v[2:3]
	v_lshl_add_u64 v[4:5], s[4:5], 0, v[2:3]
	global_load_dwordx2 v[4:5], v[4:5], off
	v_lshl_add_u64 v[2:3], s[6:7], 0, v[2:3]
	s_waitcnt vmcnt(0)
	v_div_scale_f64 v[6:7], s[0:1], v[4:5], v[4:5], v[0:1]
	v_rcp_f64_e32 v[8:9], v[6:7]
	v_div_scale_f64 v[10:11], vcc, v[0:1], v[4:5], v[0:1]
	v_fma_f64 v[12:13], -v[6:7], v[8:9], 1.0
	v_fmac_f64_e32 v[8:9], v[8:9], v[12:13]
	v_fma_f64 v[12:13], -v[6:7], v[8:9], 1.0
	v_fmac_f64_e32 v[8:9], v[8:9], v[12:13]
	v_mul_f64 v[12:13], v[10:11], v[8:9]
	v_fma_f64 v[6:7], -v[6:7], v[12:13], v[10:11]
	v_div_fmas_f64 v[6:7], v[6:7], v[8:9], v[12:13]
	v_div_fixup_f64 v[0:1], v[6:7], v[4:5], v[0:1]
	global_store_dwordx2 v[2:3], v[0:1], off
.LBB1_6:
	s_endpgm
	.section	.rodata,"a",@progbits
	.p2align	6, 0x0
	.amdhsa_kernel _Z11ccc_loop1_2PKdS0_S0_PdPKiiS3_S3_ii
		.amdhsa_group_segment_fixed_size 0
		.amdhsa_private_segment_fixed_size 0
		.amdhsa_kernarg_size 328
		.amdhsa_user_sgpr_count 2
		.amdhsa_user_sgpr_dispatch_ptr 0
		.amdhsa_user_sgpr_queue_ptr 0
		.amdhsa_user_sgpr_kernarg_segment_ptr 1
		.amdhsa_user_sgpr_dispatch_id 0
		.amdhsa_user_sgpr_kernarg_preload_length 0
		.amdhsa_user_sgpr_kernarg_preload_offset 0
		.amdhsa_user_sgpr_private_segment_size 0
		.amdhsa_uses_dynamic_stack 0
		.amdhsa_enable_private_segment 0
		.amdhsa_system_sgpr_workgroup_id_x 1
		.amdhsa_system_sgpr_workgroup_id_y 0
		.amdhsa_system_sgpr_workgroup_id_z 0
		.amdhsa_system_sgpr_workgroup_info 0
		.amdhsa_system_vgpr_workitem_id 0
		.amdhsa_next_free_vgpr 14
		.amdhsa_next_free_sgpr 12
		.amdhsa_accum_offset 16
		.amdhsa_reserve_vcc 1
		.amdhsa_float_round_mode_32 0
		.amdhsa_float_round_mode_16_64 0
		.amdhsa_float_denorm_mode_32 3
		.amdhsa_float_denorm_mode_16_64 3
		.amdhsa_dx10_clamp 1
		.amdhsa_ieee_mode 1
		.amdhsa_fp16_overflow 0
		.amdhsa_tg_split 0
		.amdhsa_exception_fp_ieee_invalid_op 0
		.amdhsa_exception_fp_denorm_src 0
		.amdhsa_exception_fp_ieee_div_zero 0
		.amdhsa_exception_fp_ieee_overflow 0
		.amdhsa_exception_fp_ieee_underflow 0
		.amdhsa_exception_fp_ieee_inexact 0
		.amdhsa_exception_int_div_zero 0
	.end_amdhsa_kernel
	.text
.Lfunc_end1:
	.size	_Z11ccc_loop1_2PKdS0_S0_PdPKiiS3_S3_ii, .Lfunc_end1-_Z11ccc_loop1_2PKdS0_S0_PdPKiiS3_S3_ii
                                        ; -- End function
	.set _Z11ccc_loop1_2PKdS0_S0_PdPKiiS3_S3_ii.num_vgpr, 14
	.set _Z11ccc_loop1_2PKdS0_S0_PdPKiiS3_S3_ii.num_agpr, 0
	.set _Z11ccc_loop1_2PKdS0_S0_PdPKiiS3_S3_ii.numbered_sgpr, 12
	.set _Z11ccc_loop1_2PKdS0_S0_PdPKiiS3_S3_ii.num_named_barrier, 0
	.set _Z11ccc_loop1_2PKdS0_S0_PdPKiiS3_S3_ii.private_seg_size, 0
	.set _Z11ccc_loop1_2PKdS0_S0_PdPKiiS3_S3_ii.uses_vcc, 1
	.set _Z11ccc_loop1_2PKdS0_S0_PdPKiiS3_S3_ii.uses_flat_scratch, 0
	.set _Z11ccc_loop1_2PKdS0_S0_PdPKiiS3_S3_ii.has_dyn_sized_stack, 0
	.set _Z11ccc_loop1_2PKdS0_S0_PdPKiiS3_S3_ii.has_recursion, 0
	.set _Z11ccc_loop1_2PKdS0_S0_PdPKiiS3_S3_ii.has_indirect_call, 0
	.section	.AMDGPU.csdata,"",@progbits
; Kernel info:
; codeLenInByte = 432
; TotalNumSgprs: 18
; NumVgprs: 14
; NumAgprs: 0
; TotalNumVgprs: 14
; ScratchSize: 0
; MemoryBound: 0
; FloatMode: 240
; IeeeMode: 1
; LDSByteSize: 0 bytes/workgroup (compile time only)
; SGPRBlocks: 2
; VGPRBlocks: 1
; NumSGPRsForWavesPerEU: 18
; NumVGPRsForWavesPerEU: 14
; AccumOffset: 16
; Occupancy: 8
; WaveLimiterHint : 1
; COMPUTE_PGM_RSRC2:SCRATCH_EN: 0
; COMPUTE_PGM_RSRC2:USER_SGPR: 2
; COMPUTE_PGM_RSRC2:TRAP_HANDLER: 0
; COMPUTE_PGM_RSRC2:TGID_X_EN: 1
; COMPUTE_PGM_RSRC2:TGID_Y_EN: 0
; COMPUTE_PGM_RSRC2:TGID_Z_EN: 0
; COMPUTE_PGM_RSRC2:TIDIG_COMP_CNT: 0
; COMPUTE_PGM_RSRC3_GFX90A:ACCUM_OFFSET: 3
; COMPUTE_PGM_RSRC3_GFX90A:TG_SPLIT: 0
	.text
	.protected	_Z9ccc_loop2PKiS0_S0_PKdS2_S2_S2_S2_S2_PdS3_iiPi ; -- Begin function _Z9ccc_loop2PKiS0_S0_PKdS2_S2_S2_S2_S2_PdS3_iiPi
	.globl	_Z9ccc_loop2PKiS0_S0_PKdS2_S2_S2_S2_S2_PdS3_iiPi
	.p2align	8
	.type	_Z9ccc_loop2PKiS0_S0_PKdS2_S2_S2_S2_S2_PdS3_iiPi,@function
_Z9ccc_loop2PKiS0_S0_PKdS2_S2_S2_S2_S2_PdS3_iiPi: ; @_Z9ccc_loop2PKiS0_S0_PKdS2_S2_S2_S2_S2_PdS3_iiPi
; %bb.0:
	s_load_dword s6, s[0:1], 0x74
	s_load_dwordx2 s[4:5], s[0:1], 0x58
	v_and_b32_e32 v1, 0x3ff, v0
	v_bfe_u32 v0, v0, 10, 10
	s_waitcnt lgkmcnt(0)
	s_lshr_b32 s7, s6, 16
	s_and_b32 s6, s6, 0xffff
	s_mul_i32 s2, s2, s6
	s_mul_i32 s3, s3, s7
	v_add_u32_e32 v2, s2, v1
	v_add_u32_e32 v0, s3, v0
	v_cmp_gt_i32_e32 vcc, s4, v2
	v_cmp_gt_i32_e64 s[2:3], s5, v0
	s_and_b64 s[2:3], vcc, s[2:3]
	s_and_saveexec_b64 s[6:7], s[2:3]
	s_cbranch_execz .LBB2_3
; %bb.1:
	s_load_dwordx2 s[2:3], s[0:1], 0x0
	v_mad_u64_u32 v[0:1], s[4:5], v0, s4, v[2:3]
	v_ashrrev_i32_e32 v1, 31, v0
	s_waitcnt lgkmcnt(0)
	v_lshl_add_u64 v[2:3], v[0:1], 2, s[2:3]
	global_load_dword v2, v[2:3], off
	s_waitcnt vmcnt(0)
	v_cmp_lt_i32_e32 vcc, 0, v2
	s_and_b64 exec, exec, vcc
	s_cbranch_execz .LBB2_3
; %bb.2:
	s_load_dwordx4 s[4:7], s[0:1], 0x40
	s_load_dwordx2 s[2:3], s[0:1], 0x18
	s_load_dwordx2 s[8:9], s[0:1], 0x28
	v_mov_b32_e32 v3, 0
	v_lshlrev_b64 v[0:1], 3, v[0:1]
	s_waitcnt lgkmcnt(0)
	v_lshl_add_u64 v[2:3], v[2:3], 3, s[4:5]
	v_lshl_add_u64 v[4:5], s[2:3], 0, v[0:1]
	global_load_dwordx2 v[2:3], v[2:3], off offset:-8
	v_lshl_add_u64 v[6:7], s[8:9], 0, v[0:1]
	global_load_dwordx2 v[4:5], v[4:5], off
	v_lshl_add_u64 v[0:1], s[6:7], 0, v[0:1]
	global_load_dwordx2 v[6:7], v[6:7], off
	s_waitcnt vmcnt(1)
	v_mul_f64 v[2:3], v[2:3], v[4:5]
	s_waitcnt vmcnt(0)
	v_mul_f64 v[2:3], v[2:3], v[6:7]
	global_store_dwordx2 v[0:1], v[2:3], off
.LBB2_3:
	s_endpgm
	.section	.rodata,"a",@progbits
	.p2align	6, 0x0
	.amdhsa_kernel _Z9ccc_loop2PKiS0_S0_PKdS2_S2_S2_S2_S2_PdS3_iiPi
		.amdhsa_group_segment_fixed_size 0
		.amdhsa_private_segment_fixed_size 0
		.amdhsa_kernarg_size 360
		.amdhsa_user_sgpr_count 2
		.amdhsa_user_sgpr_dispatch_ptr 0
		.amdhsa_user_sgpr_queue_ptr 0
		.amdhsa_user_sgpr_kernarg_segment_ptr 1
		.amdhsa_user_sgpr_dispatch_id 0
		.amdhsa_user_sgpr_kernarg_preload_length 0
		.amdhsa_user_sgpr_kernarg_preload_offset 0
		.amdhsa_user_sgpr_private_segment_size 0
		.amdhsa_uses_dynamic_stack 0
		.amdhsa_enable_private_segment 0
		.amdhsa_system_sgpr_workgroup_id_x 1
		.amdhsa_system_sgpr_workgroup_id_y 1
		.amdhsa_system_sgpr_workgroup_id_z 0
		.amdhsa_system_sgpr_workgroup_info 0
		.amdhsa_system_vgpr_workitem_id 1
		.amdhsa_next_free_vgpr 8
		.amdhsa_next_free_sgpr 10
		.amdhsa_accum_offset 8
		.amdhsa_reserve_vcc 1
		.amdhsa_float_round_mode_32 0
		.amdhsa_float_round_mode_16_64 0
		.amdhsa_float_denorm_mode_32 3
		.amdhsa_float_denorm_mode_16_64 3
		.amdhsa_dx10_clamp 1
		.amdhsa_ieee_mode 1
		.amdhsa_fp16_overflow 0
		.amdhsa_tg_split 0
		.amdhsa_exception_fp_ieee_invalid_op 0
		.amdhsa_exception_fp_denorm_src 0
		.amdhsa_exception_fp_ieee_div_zero 0
		.amdhsa_exception_fp_ieee_overflow 0
		.amdhsa_exception_fp_ieee_underflow 0
		.amdhsa_exception_fp_ieee_inexact 0
		.amdhsa_exception_int_div_zero 0
	.end_amdhsa_kernel
	.text
.Lfunc_end2:
	.size	_Z9ccc_loop2PKiS0_S0_PKdS2_S2_S2_S2_S2_PdS3_iiPi, .Lfunc_end2-_Z9ccc_loop2PKiS0_S0_PKdS2_S2_S2_S2_S2_PdS3_iiPi
                                        ; -- End function
	.set _Z9ccc_loop2PKiS0_S0_PKdS2_S2_S2_S2_S2_PdS3_iiPi.num_vgpr, 8
	.set _Z9ccc_loop2PKiS0_S0_PKdS2_S2_S2_S2_S2_PdS3_iiPi.num_agpr, 0
	.set _Z9ccc_loop2PKiS0_S0_PKdS2_S2_S2_S2_S2_PdS3_iiPi.numbered_sgpr, 10
	.set _Z9ccc_loop2PKiS0_S0_PKdS2_S2_S2_S2_S2_PdS3_iiPi.num_named_barrier, 0
	.set _Z9ccc_loop2PKiS0_S0_PKdS2_S2_S2_S2_S2_PdS3_iiPi.private_seg_size, 0
	.set _Z9ccc_loop2PKiS0_S0_PKdS2_S2_S2_S2_S2_PdS3_iiPi.uses_vcc, 1
	.set _Z9ccc_loop2PKiS0_S0_PKdS2_S2_S2_S2_S2_PdS3_iiPi.uses_flat_scratch, 0
	.set _Z9ccc_loop2PKiS0_S0_PKdS2_S2_S2_S2_S2_PdS3_iiPi.has_dyn_sized_stack, 0
	.set _Z9ccc_loop2PKiS0_S0_PKdS2_S2_S2_S2_S2_PdS3_iiPi.has_recursion, 0
	.set _Z9ccc_loop2PKiS0_S0_PKdS2_S2_S2_S2_S2_PdS3_iiPi.has_indirect_call, 0
	.section	.AMDGPU.csdata,"",@progbits
; Kernel info:
; codeLenInByte = 276
; TotalNumSgprs: 16
; NumVgprs: 8
; NumAgprs: 0
; TotalNumVgprs: 8
; ScratchSize: 0
; MemoryBound: 0
; FloatMode: 240
; IeeeMode: 1
; LDSByteSize: 0 bytes/workgroup (compile time only)
; SGPRBlocks: 1
; VGPRBlocks: 0
; NumSGPRsForWavesPerEU: 16
; NumVGPRsForWavesPerEU: 8
; AccumOffset: 8
; Occupancy: 8
; WaveLimiterHint : 1
; COMPUTE_PGM_RSRC2:SCRATCH_EN: 0
; COMPUTE_PGM_RSRC2:USER_SGPR: 2
; COMPUTE_PGM_RSRC2:TRAP_HANDLER: 0
; COMPUTE_PGM_RSRC2:TGID_X_EN: 1
; COMPUTE_PGM_RSRC2:TGID_Y_EN: 1
; COMPUTE_PGM_RSRC2:TGID_Z_EN: 0
; COMPUTE_PGM_RSRC2:TIDIG_COMP_CNT: 1
; COMPUTE_PGM_RSRC3_GFX90A:ACCUM_OFFSET: 1
; COMPUTE_PGM_RSRC3_GFX90A:TG_SPLIT: 0
	.text
	.protected	_Z11ccc_loop2_2PKiPKdS2_S2_S2_PdPii ; -- Begin function _Z11ccc_loop2_2PKiPKdS2_S2_S2_PdPii
	.globl	_Z11ccc_loop2_2PKiPKdS2_S2_S2_PdPii
	.p2align	8
	.type	_Z11ccc_loop2_2PKiPKdS2_S2_S2_PdPii,@function
_Z11ccc_loop2_2PKiPKdS2_S2_S2_PdPii:    ; @_Z11ccc_loop2_2PKiPKdS2_S2_S2_PdPii
; %bb.0:
	s_load_dword s3, s[0:1], 0x4c
	s_load_dword s4, s[0:1], 0x38
	s_waitcnt lgkmcnt(0)
	s_and_b32 s3, s3, 0xffff
	s_mul_i32 s2, s2, s3
	v_add_u32_e32 v0, s2, v0
	v_cmp_gt_i32_e32 vcc, s4, v0
	s_and_saveexec_b64 s[2:3], vcc
	s_cbranch_execz .LBB3_2
; %bb.1:
	s_load_dwordx8 s[4:11], s[0:1], 0x0
	v_ashrrev_i32_e32 v1, 31, v0
	s_load_dwordx4 s[0:3], s[0:1], 0x20
	s_waitcnt lgkmcnt(0)
	v_lshl_add_u64 v[2:3], v[0:1], 2, s[4:5]
	global_load_dword v2, v[2:3], off
	v_lshlrev_b64 v[0:1], 3, v[0:1]
	v_lshl_add_u64 v[4:5], s[6:7], 0, v[0:1]
	global_load_dwordx2 v[4:5], v[4:5], off
	v_lshl_add_u64 v[6:7], s[8:9], 0, v[0:1]
	s_waitcnt vmcnt(1)
	v_ashrrev_i32_e32 v3, 31, v2
	v_lshl_add_u64 v[2:3], v[2:3], 3, s[0:1]
	global_load_dwordx2 v[8:9], v[2:3], off
	global_load_dwordx2 v[10:11], v[6:7], off
	v_lshl_add_u64 v[2:3], s[10:11], 0, v[0:1]
	global_load_dwordx2 v[2:3], v[2:3], off
	v_lshl_add_u64 v[0:1], s[2:3], 0, v[0:1]
	s_waitcnt vmcnt(2)
	v_mul_f64 v[4:5], v[8:9], v[4:5]
	s_waitcnt vmcnt(1)
	v_mul_f64 v[4:5], v[4:5], v[10:11]
	s_waitcnt vmcnt(0)
	v_div_scale_f64 v[6:7], s[0:1], v[2:3], v[2:3], v[4:5]
	v_rcp_f64_e32 v[8:9], v[6:7]
	v_div_scale_f64 v[10:11], vcc, v[4:5], v[2:3], v[4:5]
	v_fma_f64 v[12:13], -v[6:7], v[8:9], 1.0
	v_fmac_f64_e32 v[8:9], v[8:9], v[12:13]
	v_fma_f64 v[12:13], -v[6:7], v[8:9], 1.0
	v_fmac_f64_e32 v[8:9], v[8:9], v[12:13]
	v_mul_f64 v[12:13], v[10:11], v[8:9]
	v_fma_f64 v[6:7], -v[6:7], v[12:13], v[10:11]
	v_div_fmas_f64 v[6:7], v[6:7], v[8:9], v[12:13]
	v_div_fixup_f64 v[2:3], v[6:7], v[2:3], v[4:5]
	global_store_dwordx2 v[0:1], v[2:3], off
.LBB3_2:
	s_endpgm
	.section	.rodata,"a",@progbits
	.p2align	6, 0x0
	.amdhsa_kernel _Z11ccc_loop2_2PKiPKdS2_S2_S2_PdPii
		.amdhsa_group_segment_fixed_size 0
		.amdhsa_private_segment_fixed_size 0
		.amdhsa_kernarg_size 320
		.amdhsa_user_sgpr_count 2
		.amdhsa_user_sgpr_dispatch_ptr 0
		.amdhsa_user_sgpr_queue_ptr 0
		.amdhsa_user_sgpr_kernarg_segment_ptr 1
		.amdhsa_user_sgpr_dispatch_id 0
		.amdhsa_user_sgpr_kernarg_preload_length 0
		.amdhsa_user_sgpr_kernarg_preload_offset 0
		.amdhsa_user_sgpr_private_segment_size 0
		.amdhsa_uses_dynamic_stack 0
		.amdhsa_enable_private_segment 0
		.amdhsa_system_sgpr_workgroup_id_x 1
		.amdhsa_system_sgpr_workgroup_id_y 0
		.amdhsa_system_sgpr_workgroup_id_z 0
		.amdhsa_system_sgpr_workgroup_info 0
		.amdhsa_system_vgpr_workitem_id 0
		.amdhsa_next_free_vgpr 14
		.amdhsa_next_free_sgpr 12
		.amdhsa_accum_offset 16
		.amdhsa_reserve_vcc 1
		.amdhsa_float_round_mode_32 0
		.amdhsa_float_round_mode_16_64 0
		.amdhsa_float_denorm_mode_32 3
		.amdhsa_float_denorm_mode_16_64 3
		.amdhsa_dx10_clamp 1
		.amdhsa_ieee_mode 1
		.amdhsa_fp16_overflow 0
		.amdhsa_tg_split 0
		.amdhsa_exception_fp_ieee_invalid_op 0
		.amdhsa_exception_fp_denorm_src 0
		.amdhsa_exception_fp_ieee_div_zero 0
		.amdhsa_exception_fp_ieee_overflow 0
		.amdhsa_exception_fp_ieee_underflow 0
		.amdhsa_exception_fp_ieee_inexact 0
		.amdhsa_exception_int_div_zero 0
	.end_amdhsa_kernel
	.text
.Lfunc_end3:
	.size	_Z11ccc_loop2_2PKiPKdS2_S2_S2_PdPii, .Lfunc_end3-_Z11ccc_loop2_2PKiPKdS2_S2_S2_PdPii
                                        ; -- End function
	.set _Z11ccc_loop2_2PKiPKdS2_S2_S2_PdPii.num_vgpr, 14
	.set _Z11ccc_loop2_2PKiPKdS2_S2_S2_PdPii.num_agpr, 0
	.set _Z11ccc_loop2_2PKiPKdS2_S2_S2_PdPii.numbered_sgpr, 12
	.set _Z11ccc_loop2_2PKiPKdS2_S2_S2_PdPii.num_named_barrier, 0
	.set _Z11ccc_loop2_2PKiPKdS2_S2_S2_PdPii.private_seg_size, 0
	.set _Z11ccc_loop2_2PKiPKdS2_S2_S2_PdPii.uses_vcc, 1
	.set _Z11ccc_loop2_2PKiPKdS2_S2_S2_PdPii.uses_flat_scratch, 0
	.set _Z11ccc_loop2_2PKiPKdS2_S2_S2_PdPii.has_dyn_sized_stack, 0
	.set _Z11ccc_loop2_2PKiPKdS2_S2_S2_PdPii.has_recursion, 0
	.set _Z11ccc_loop2_2PKiPKdS2_S2_S2_PdPii.has_indirect_call, 0
	.section	.AMDGPU.csdata,"",@progbits
; Kernel info:
; codeLenInByte = 292
; TotalNumSgprs: 18
; NumVgprs: 14
; NumAgprs: 0
; TotalNumVgprs: 14
; ScratchSize: 0
; MemoryBound: 0
; FloatMode: 240
; IeeeMode: 1
; LDSByteSize: 0 bytes/workgroup (compile time only)
; SGPRBlocks: 2
; VGPRBlocks: 1
; NumSGPRsForWavesPerEU: 18
; NumVGPRsForWavesPerEU: 14
; AccumOffset: 16
; Occupancy: 8
; WaveLimiterHint : 1
; COMPUTE_PGM_RSRC2:SCRATCH_EN: 0
; COMPUTE_PGM_RSRC2:USER_SGPR: 2
; COMPUTE_PGM_RSRC2:TRAP_HANDLER: 0
; COMPUTE_PGM_RSRC2:TGID_X_EN: 1
; COMPUTE_PGM_RSRC2:TGID_Y_EN: 0
; COMPUTE_PGM_RSRC2:TGID_Z_EN: 0
; COMPUTE_PGM_RSRC2:TIDIG_COMP_CNT: 0
; COMPUTE_PGM_RSRC3_GFX90A:ACCUM_OFFSET: 3
; COMPUTE_PGM_RSRC3_GFX90A:TG_SPLIT: 0
	.text
	.protected	_Z9ccc_loop3PKiS0_S0_PKdS2_PdS3_S2_S2_iiPi ; -- Begin function _Z9ccc_loop3PKiS0_S0_PKdS2_PdS3_S2_S2_iiPi
	.globl	_Z9ccc_loop3PKiS0_S0_PKdS2_PdS3_S2_S2_iiPi
	.p2align	8
	.type	_Z9ccc_loop3PKiS0_S0_PKdS2_PdS3_S2_S2_iiPi,@function
_Z9ccc_loop3PKiS0_S0_PKdS2_PdS3_S2_S2_iiPi: ; @_Z9ccc_loop3PKiS0_S0_PKdS2_PdS3_S2_S2_iiPi
; %bb.0:
	s_load_dword s4, s[0:1], 0x64
	s_load_dwordx2 s[8:9], s[0:1], 0x48
	v_and_b32_e32 v1, 0x3ff, v0
	s_waitcnt lgkmcnt(0)
	s_and_b32 s5, s4, 0xffff
	s_mul_i32 s2, s2, s5
	v_add_u32_e32 v20, s2, v1
	s_add_i32 s2, s8, -1
	v_cmp_gt_i32_e32 vcc, s2, v20
	s_and_saveexec_b64 s[6:7], vcc
	s_cbranch_execz .LBB4_238
; %bb.1:
	s_lshr_b32 s2, s4, 16
	s_mul_i32 s3, s3, s2
	v_bfe_u32 v0, v0, 10, 10
	v_add_u32_e32 v0, s3, v0
	s_add_i32 s2, s9, -1
	v_min_i32_e32 v1, v20, v0
	v_cmp_gt_i32_e32 vcc, s2, v0
	v_cmp_lt_i32_e64 s[2:3], 0, v1
	s_and_b64 s[2:3], s[2:3], vcc
	s_and_b64 exec, exec, s[2:3]
	s_cbranch_execz .LBB4_238
; %bb.2:
	v_mul_lo_u32 v37, v0, s8
	s_load_dwordx4 s[4:7], s[0:1], 0x38
	s_load_dwordx2 s[20:21], s[0:1], 0x20
	v_add_u32_e32 v16, v37, v20
	v_add_u32_e32 v28, -1, v16
	v_ashrrev_i32_e32 v29, 31, v28
	v_subrev_u32_e32 v21, s8, v37
	v_lshlrev_b64 v[18:19], 3, v[28:29]
	s_waitcnt lgkmcnt(0)
	v_lshl_add_u64 v[22:23], s[4:5], 0, v[18:19]
	v_lshl_add_u32 v36, s8, 1, v21
	global_load_dwordx2 v[46:47], v[22:23], off
	v_add_u32_e32 v22, v36, v20
	v_ashrrev_i32_e32 v23, 31, v22
	v_lshlrev_b64 v[24:25], 3, v[22:23]
	v_add_u32_e32 v26, v21, v20
	v_lshl_add_u64 v[30:31], s[4:5], 0, v[24:25]
	v_lshl_add_u64 v[24:25], s[6:7], 0, v[24:25]
	global_load_dwordx4 v[42:45], v[24:25], off
	v_add_u32_e32 v24, -1, v26
	v_ashrrev_i32_e32 v25, 31, v24
	global_load_dwordx4 v[38:41], v[30:31], off
	v_lshlrev_b64 v[30:31], 3, v[24:25]
	v_lshl_add_u64 v[32:33], s[4:5], 0, v[30:31]
	v_lshl_add_u64 v[30:31], s[6:7], 0, v[30:31]
	global_load_dwordx2 v[50:51], v[30:31], off
	v_add_u32_e32 v30, -1, v22
	v_ashrrev_i32_e32 v17, 31, v16
	v_ashrrev_i32_e32 v27, 31, v26
	;; [unrolled: 1-line block ×3, first 2 shown]
	v_lshlrev_b64 v[4:5], 3, v[16:17]
	v_lshlrev_b64 v[12:13], 3, v[26:27]
	global_load_dwordx2 v[48:49], v[32:33], off
	v_lshlrev_b64 v[32:33], 3, v[30:31]
	v_lshl_add_u64 v[0:1], s[4:5], 0, v[4:5]
	v_lshl_add_u64 v[4:5], s[6:7], 0, v[4:5]
	;; [unrolled: 1-line block ×7, first 2 shown]
	global_load_dwordx4 v[0:3], v[0:1], off
	s_load_dwordx2 s[22:23], s[0:1], 0x50
	global_load_dwordx4 v[4:7], v[4:5], off
	s_waitcnt vmcnt(1)
	v_add_f64 v[2:3], v[0:1], -v[2:3]
	global_load_dwordx4 v[8:11], v[8:9], off
	s_waitcnt vmcnt(1)
	v_add_f64 v[6:7], v[4:5], -v[6:7]
	global_load_dwordx4 v[12:15], v[12:13], off
	v_add_f64 v[46:47], v[0:1], -v[46:47]
	global_load_dwordx2 v[18:19], v[18:19], off
	v_add_f64 v[62:63], v[4:5], -v[4:5]
	global_load_dwordx2 v[52:53], v[34:35], off
	global_load_dwordx2 v[54:55], v[32:33], off
	s_load_dwordx2 s[2:3], s[0:1], 0x0
	s_load_dwordx4 s[16:19], s[0:1], 0x10
	v_add_f64 v[42:43], v[4:5], -v[42:43]
	v_add_f64 v[44:45], v[4:5], -v[44:45]
	;; [unrolled: 1-line block ×3, first 2 shown]
	s_waitcnt lgkmcnt(0)
	v_lshl_add_u64 v[32:33], v[16:17], 2, s[2:3]
	global_load_dword v34, v[32:33], off
	v_mul_f64 v[6:7], v[6:7], v[6:7]
	v_add_f64 v[60:61], v[0:1], -v[0:1]
	v_add_f64 v[38:39], v[0:1], -v[38:39]
	;; [unrolled: 1-line block ×4, first 2 shown]
	v_fmac_f64_e32 v[6:7], v[2:3], v[2:3]
	v_mul_f64 v[2:3], v[42:43], v[42:43]
	v_fmac_f64_e32 v[2:3], v[38:39], v[38:39]
	s_waitcnt vmcnt(5)
	v_add_f64 v[58:59], v[0:1], -v[10:11]
	v_add_f64 v[56:57], v[0:1], -v[8:9]
	s_waitcnt vmcnt(4)
	v_add_f64 v[10:11], v[4:5], -v[14:15]
	v_add_f64 v[8:9], v[4:5], -v[12:13]
	s_waitcnt vmcnt(3)
	v_add_f64 v[18:19], v[4:5], -v[18:19]
	v_mul_f64 v[12:13], v[10:11], v[10:11]
	v_mul_f64 v[10:11], v[18:19], v[18:19]
	s_waitcnt vmcnt(1)
	v_add_f64 v[4:5], v[4:5], -v[54:55]
	v_mul_f64 v[14:15], v[8:9], v[8:9]
	v_mul_f64 v[8:9], v[62:63], v[62:63]
	;; [unrolled: 1-line block ×3, first 2 shown]
	v_fmac_f64_e32 v[10:11], v[46:47], v[46:47]
	v_add_f64 v[46:47], v[0:1], -v[52:53]
	v_mul_f64 v[0:1], v[44:45], v[44:45]
	v_mul_f64 v[4:5], v[4:5], v[4:5]
	v_fmac_f64_e32 v[14:15], v[56:57], v[56:57]
	v_fmac_f64_e32 v[12:13], v[58:59], v[58:59]
	;; [unrolled: 1-line block ×6, first 2 shown]
	s_waitcnt vmcnt(0)
	v_cmp_lt_i32_e32 vcc, 0, v34
	s_and_saveexec_b64 s[4:5], vcc
	s_xor_b64 s[4:5], exec, s[4:5]
	s_cbranch_execz .LBB4_116
; %bb.3:
	v_add_u32_e32 v23, -1, v20
	v_add_u32_e32 v20, v23, v21
	v_mov_b32_e32 v21, 0
	v_lshl_add_u64 v[24:25], v[20:21], 2, s[2:3]
	global_load_dword v27, v[24:25], off
                                        ; implicit-def: $vgpr24_vgpr25
	s_waitcnt vmcnt(0)
	v_cmp_lt_i32_e32 vcc, 0, v27
	s_and_saveexec_b64 s[6:7], vcc
	s_xor_b64 s[6:7], exec, s[6:7]
	s_cbranch_execz .LBB4_7
; %bb.4:
	v_cmp_eq_u32_e32 vcc, v34, v27
	v_mov_b64_e32 v[24:25], 0
	s_and_saveexec_b64 s[8:9], vcc
	s_cbranch_execz .LBB4_6
; %bb.5:
	v_lshl_add_u64 v[20:21], v[20:21], 3, s[18:19]
	global_load_dwordx2 v[20:21], v[20:21], off
	s_waitcnt vmcnt(0)
	v_div_scale_f64 v[24:25], s[10:11], v[18:19], v[18:19], v[20:21]
	v_rcp_f64_e32 v[28:29], v[24:25]
	v_div_scale_f64 v[30:31], vcc, v[20:21], v[18:19], v[20:21]
	v_fma_f64 v[32:33], -v[24:25], v[28:29], 1.0
	v_fmac_f64_e32 v[28:29], v[28:29], v[32:33]
	v_fma_f64 v[32:33], -v[24:25], v[28:29], 1.0
	v_fmac_f64_e32 v[28:29], v[28:29], v[32:33]
	v_mul_f64 v[32:33], v[30:31], v[28:29]
	v_fma_f64 v[24:25], -v[24:25], v[32:33], v[30:31]
	v_div_fmas_f64 v[24:25], v[24:25], v[28:29], v[32:33]
	v_div_fixup_f64 v[18:19], v[24:25], v[18:19], v[20:21]
	v_add_f64 v[24:25], v[18:19], 0
	v_mov_b32_e32 v21, 1
.LBB4_6:
	s_or_b64 exec, exec, s[8:9]
                                        ; implicit-def: $vgpr27
                                        ; implicit-def: $vgpr18_vgpr19
.LBB4_7:
	s_or_saveexec_b64 s[6:7], s[6:7]
	v_add_u32_e32 v35, -1, v34
	s_xor_b64 exec, exec, s[6:7]
	s_cbranch_execz .LBB4_17
; %bb.8:
	v_mov_b32_e32 v21, 0
	v_sub_u32_e32 v20, 0, v27
	v_sub_u32_e32 v28, 1, v27
	v_lshl_add_u64 v[24:25], v[20:21], 2, s[22:23]
	v_ashrrev_i32_e32 v29, 31, v28
	v_lshl_add_u64 v[28:29], v[28:29], 2, s[22:23]
	global_load_dword v20, v[24:25], off
	global_load_dword v27, v[28:29], off
	v_mov_b64_e32 v[24:25], 0
	s_waitcnt vmcnt(0)
	v_cmp_lt_i32_e32 vcc, v20, v27
	s_and_saveexec_b64 s[8:9], vcc
	s_cbranch_execz .LBB4_16
; %bb.9:
	v_ashrrev_i32_e32 v21, 31, v20
	v_lshl_add_u64 v[24:25], v[20:21], 2, s[16:17]
	s_mov_b64 s[12:13], 0
                                        ; implicit-def: $sgpr10_sgpr11
                                        ; implicit-def: $sgpr24_sgpr25
                                        ; implicit-def: $sgpr14_sgpr15
	s_branch .LBB4_11
.LBB4_10:                               ;   in Loop: Header=BB4_11 Depth=1
	s_or_b64 exec, exec, s[26:27]
	s_and_b64 s[26:27], exec, s[24:25]
	s_or_b64 s[12:13], s[26:27], s[12:13]
	s_andn2_b64 s[10:11], s[10:11], exec
	s_and_b64 s[26:27], s[14:15], exec
	s_or_b64 s[10:11], s[10:11], s[26:27]
	s_andn2_b64 exec, exec, s[12:13]
	s_cbranch_execz .LBB4_13
.LBB4_11:                               ; =>This Inner Loop Header: Depth=1
	global_load_dword v30, v[24:25], off
	v_mov_b64_e32 v[28:29], v[20:21]
	s_or_b64 s[14:15], s[14:15], exec
	s_or_b64 s[24:25], s[24:25], exec
                                        ; implicit-def: $vgpr20_vgpr21
	s_waitcnt vmcnt(0)
	v_cmp_ne_u32_e32 vcc, v30, v35
	s_and_saveexec_b64 s[26:27], vcc
	s_cbranch_execz .LBB4_10
; %bb.12:                               ;   in Loop: Header=BB4_11 Depth=1
	v_lshl_add_u64 v[20:21], v[28:29], 0, 1
	v_cmp_ge_i32_e32 vcc, v20, v27
	s_andn2_b64 s[24:25], s[24:25], exec
	s_and_b64 s[28:29], vcc, exec
	v_lshl_add_u64 v[24:25], v[24:25], 0, 4
	s_andn2_b64 s[14:15], s[14:15], exec
	s_or_b64 s[24:25], s[24:25], s[28:29]
	s_branch .LBB4_10
.LBB4_13:
	s_or_b64 exec, exec, s[12:13]
	v_mov_b64_e32 v[24:25], 0
	v_mov_b32_e32 v21, 0
	s_and_saveexec_b64 s[12:13], s[10:11]
	s_xor_b64 s[10:11], exec, s[12:13]
	s_cbranch_execz .LBB4_15
; %bb.14:
	v_lshl_add_u64 v[20:21], v[28:29], 3, s[20:21]
	global_load_dwordx2 v[20:21], v[20:21], off
	s_waitcnt vmcnt(0)
	v_div_scale_f64 v[24:25], s[12:13], v[18:19], v[18:19], v[20:21]
	v_rcp_f64_e32 v[28:29], v[24:25]
	v_div_scale_f64 v[30:31], vcc, v[20:21], v[18:19], v[20:21]
	v_fma_f64 v[32:33], -v[24:25], v[28:29], 1.0
	v_fmac_f64_e32 v[28:29], v[28:29], v[32:33]
	v_fma_f64 v[32:33], -v[24:25], v[28:29], 1.0
	v_fmac_f64_e32 v[28:29], v[28:29], v[32:33]
	v_mul_f64 v[32:33], v[30:31], v[28:29]
	v_fma_f64 v[24:25], -v[24:25], v[32:33], v[30:31]
	v_div_fmas_f64 v[24:25], v[24:25], v[28:29], v[32:33]
	v_div_fixup_f64 v[18:19], v[24:25], v[18:19], v[20:21]
	v_add_f64 v[24:25], v[18:19], 0
	v_mov_b32_e32 v21, 1
.LBB4_15:
	s_or_b64 exec, exec, s[10:11]
.LBB4_16:
	s_or_b64 exec, exec, s[8:9]
.LBB4_17:
	s_or_b64 exec, exec, s[6:7]
	v_mov_b32_e32 v27, 0
	v_lshl_add_u64 v[18:19], v[26:27], 2, s[2:3]
	global_load_dword v20, v[18:19], off
	s_waitcnt vmcnt(0)
	v_cmp_lt_i32_e32 vcc, 0, v20
	s_and_saveexec_b64 s[6:7], vcc
	s_xor_b64 s[6:7], exec, s[6:7]
	s_cbranch_execz .LBB4_21
; %bb.18:
	v_cmp_eq_u32_e32 vcc, v34, v20
	s_and_saveexec_b64 s[8:9], vcc
	s_cbranch_execz .LBB4_20
; %bb.19:
	v_lshl_add_u64 v[28:29], v[26:27], 3, s[18:19]
	global_load_dwordx2 v[28:29], v[28:29], off
	v_add_u32_e32 v21, 1, v21
	s_waitcnt vmcnt(0)
	v_div_scale_f64 v[30:31], s[10:11], v[14:15], v[14:15], v[28:29]
	v_rcp_f64_e32 v[32:33], v[30:31]
	v_div_scale_f64 v[38:39], vcc, v[28:29], v[14:15], v[28:29]
	v_fma_f64 v[40:41], -v[30:31], v[32:33], 1.0
	v_fmac_f64_e32 v[32:33], v[32:33], v[40:41]
	v_fma_f64 v[40:41], -v[30:31], v[32:33], 1.0
	v_fmac_f64_e32 v[32:33], v[32:33], v[40:41]
	v_mul_f64 v[40:41], v[38:39], v[32:33]
	v_fma_f64 v[30:31], -v[30:31], v[40:41], v[38:39]
	v_div_fmas_f64 v[30:31], v[30:31], v[32:33], v[40:41]
	v_div_fixup_f64 v[14:15], v[30:31], v[14:15], v[28:29]
	v_add_f64 v[24:25], v[24:25], v[14:15]
.LBB4_20:
	s_or_b64 exec, exec, s[8:9]
                                        ; implicit-def: $vgpr20
                                        ; implicit-def: $vgpr14_vgpr15
.LBB4_21:
	s_andn2_saveexec_b64 s[6:7], s[6:7]
	s_cbranch_execz .LBB4_31
; %bb.22:
	v_sub_u32_e32 v28, 0, v20
	v_mov_b32_e32 v29, 0
	v_lshl_add_u64 v[30:31], v[28:29], 2, s[22:23]
	v_sub_u32_e32 v28, 1, v20
	v_ashrrev_i32_e32 v29, 31, v28
	v_lshl_add_u64 v[32:33], v[28:29], 2, s[22:23]
	global_load_dword v28, v[30:31], off
	global_load_dword v20, v[32:33], off
	s_waitcnt vmcnt(0)
	v_cmp_lt_i32_e32 vcc, v28, v20
	s_and_saveexec_b64 s[8:9], vcc
	s_cbranch_execz .LBB4_30
; %bb.23:
	v_ashrrev_i32_e32 v29, 31, v28
	v_lshl_add_u64 v[30:31], v[28:29], 2, s[16:17]
	s_mov_b64 s[12:13], 0
                                        ; implicit-def: $sgpr10_sgpr11
                                        ; implicit-def: $sgpr24_sgpr25
                                        ; implicit-def: $sgpr14_sgpr15
	s_branch .LBB4_25
.LBB4_24:                               ;   in Loop: Header=BB4_25 Depth=1
	s_or_b64 exec, exec, s[26:27]
	s_and_b64 s[26:27], exec, s[24:25]
	s_or_b64 s[12:13], s[26:27], s[12:13]
	s_andn2_b64 s[10:11], s[10:11], exec
	s_and_b64 s[26:27], s[14:15], exec
	s_or_b64 s[10:11], s[10:11], s[26:27]
	s_andn2_b64 exec, exec, s[12:13]
	s_cbranch_execz .LBB4_27
.LBB4_25:                               ; =>This Inner Loop Header: Depth=1
	global_load_dword v38, v[30:31], off
	v_mov_b64_e32 v[32:33], v[28:29]
	s_or_b64 s[14:15], s[14:15], exec
	s_or_b64 s[24:25], s[24:25], exec
                                        ; implicit-def: $vgpr28_vgpr29
	s_waitcnt vmcnt(0)
	v_cmp_ne_u32_e32 vcc, v38, v35
	s_and_saveexec_b64 s[26:27], vcc
	s_cbranch_execz .LBB4_24
; %bb.26:                               ;   in Loop: Header=BB4_25 Depth=1
	v_lshl_add_u64 v[28:29], v[32:33], 0, 1
	v_cmp_ge_i32_e32 vcc, v28, v20
	s_andn2_b64 s[24:25], s[24:25], exec
	s_and_b64 s[28:29], vcc, exec
	v_lshl_add_u64 v[30:31], v[30:31], 0, 4
	s_andn2_b64 s[14:15], s[14:15], exec
	s_or_b64 s[24:25], s[24:25], s[28:29]
	s_branch .LBB4_24
.LBB4_27:
	s_or_b64 exec, exec, s[12:13]
	s_and_saveexec_b64 s[12:13], s[10:11]
	s_xor_b64 s[10:11], exec, s[12:13]
	s_cbranch_execz .LBB4_29
; %bb.28:
	v_lshl_add_u64 v[28:29], v[32:33], 3, s[20:21]
	global_load_dwordx2 v[28:29], v[28:29], off
	v_add_u32_e32 v21, 1, v21
	s_waitcnt vmcnt(0)
	v_div_scale_f64 v[30:31], s[12:13], v[14:15], v[14:15], v[28:29]
	v_rcp_f64_e32 v[32:33], v[30:31]
	v_div_scale_f64 v[38:39], vcc, v[28:29], v[14:15], v[28:29]
	v_fma_f64 v[40:41], -v[30:31], v[32:33], 1.0
	v_fmac_f64_e32 v[32:33], v[32:33], v[40:41]
	v_fma_f64 v[40:41], -v[30:31], v[32:33], 1.0
	v_fmac_f64_e32 v[32:33], v[32:33], v[40:41]
	v_mul_f64 v[40:41], v[38:39], v[32:33]
	v_fma_f64 v[30:31], -v[30:31], v[40:41], v[38:39]
	v_div_fmas_f64 v[30:31], v[30:31], v[32:33], v[40:41]
	v_div_fixup_f64 v[14:15], v[30:31], v[14:15], v[28:29]
	v_add_f64 v[24:25], v[24:25], v[14:15]
.LBB4_29:
	s_or_b64 exec, exec, s[10:11]
.LBB4_30:
	s_or_b64 exec, exec, s[8:9]
.LBB4_31:
	s_or_b64 exec, exec, s[6:7]
	global_load_dword v14, v[18:19], off offset:4
	s_waitcnt vmcnt(0)
	v_cmp_lt_i32_e32 vcc, 0, v14
	s_and_saveexec_b64 s[6:7], vcc
	s_xor_b64 s[6:7], exec, s[6:7]
	s_cbranch_execz .LBB4_35
; %bb.32:
	v_cmp_eq_u32_e32 vcc, v34, v14
	s_and_saveexec_b64 s[8:9], vcc
	s_cbranch_execz .LBB4_34
; %bb.33:
	v_lshl_add_u64 v[14:15], v[26:27], 3, s[18:19]
	global_load_dwordx2 v[14:15], v[14:15], off offset:8
	v_add_u32_e32 v21, 1, v21
	s_waitcnt vmcnt(0)
	v_div_scale_f64 v[18:19], s[10:11], v[12:13], v[12:13], v[14:15]
	v_rcp_f64_e32 v[26:27], v[18:19]
	v_div_scale_f64 v[28:29], vcc, v[14:15], v[12:13], v[14:15]
	v_fma_f64 v[30:31], -v[18:19], v[26:27], 1.0
	v_fmac_f64_e32 v[26:27], v[26:27], v[30:31]
	v_fma_f64 v[30:31], -v[18:19], v[26:27], 1.0
	v_fmac_f64_e32 v[26:27], v[26:27], v[30:31]
	v_mul_f64 v[30:31], v[28:29], v[26:27]
	v_fma_f64 v[18:19], -v[18:19], v[30:31], v[28:29]
	v_div_fmas_f64 v[18:19], v[18:19], v[26:27], v[30:31]
	v_div_fixup_f64 v[12:13], v[18:19], v[12:13], v[14:15]
	v_add_f64 v[24:25], v[24:25], v[12:13]
.LBB4_34:
	s_or_b64 exec, exec, s[8:9]
                                        ; implicit-def: $vgpr14
                                        ; implicit-def: $vgpr12_vgpr13
.LBB4_35:
	s_andn2_saveexec_b64 s[6:7], s[6:7]
	s_cbranch_execz .LBB4_45
; %bb.36:
	v_sub_u32_e32 v18, 0, v14
	v_mov_b32_e32 v19, 0
	v_sub_u32_e32 v14, 1, v14
	v_lshl_add_u64 v[18:19], v[18:19], 2, s[22:23]
	v_ashrrev_i32_e32 v15, 31, v14
	v_lshl_add_u64 v[26:27], v[14:15], 2, s[22:23]
	global_load_dword v14, v[18:19], off
	global_load_dword v20, v[26:27], off
	s_waitcnt vmcnt(0)
	v_cmp_lt_i32_e32 vcc, v14, v20
	s_and_saveexec_b64 s[8:9], vcc
	s_cbranch_execz .LBB4_44
; %bb.37:
	v_ashrrev_i32_e32 v15, 31, v14
	v_lshl_add_u64 v[18:19], v[14:15], 2, s[16:17]
	s_mov_b64 s[12:13], 0
                                        ; implicit-def: $sgpr10_sgpr11
                                        ; implicit-def: $sgpr24_sgpr25
                                        ; implicit-def: $sgpr14_sgpr15
	s_branch .LBB4_39
.LBB4_38:                               ;   in Loop: Header=BB4_39 Depth=1
	s_or_b64 exec, exec, s[26:27]
	s_and_b64 s[26:27], exec, s[24:25]
	s_or_b64 s[12:13], s[26:27], s[12:13]
	s_andn2_b64 s[10:11], s[10:11], exec
	s_and_b64 s[26:27], s[14:15], exec
	s_or_b64 s[10:11], s[10:11], s[26:27]
	s_andn2_b64 exec, exec, s[12:13]
	s_cbranch_execz .LBB4_41
.LBB4_39:                               ; =>This Inner Loop Header: Depth=1
	global_load_dword v28, v[18:19], off
	v_mov_b64_e32 v[26:27], v[14:15]
	s_or_b64 s[14:15], s[14:15], exec
	s_or_b64 s[24:25], s[24:25], exec
                                        ; implicit-def: $vgpr14_vgpr15
	s_waitcnt vmcnt(0)
	v_cmp_ne_u32_e32 vcc, v28, v35
	s_and_saveexec_b64 s[26:27], vcc
	s_cbranch_execz .LBB4_38
; %bb.40:                               ;   in Loop: Header=BB4_39 Depth=1
	v_lshl_add_u64 v[14:15], v[26:27], 0, 1
	v_cmp_ge_i32_e32 vcc, v14, v20
	s_andn2_b64 s[24:25], s[24:25], exec
	s_and_b64 s[28:29], vcc, exec
	v_lshl_add_u64 v[18:19], v[18:19], 0, 4
	s_andn2_b64 s[14:15], s[14:15], exec
	s_or_b64 s[24:25], s[24:25], s[28:29]
	s_branch .LBB4_38
.LBB4_41:
	s_or_b64 exec, exec, s[12:13]
	s_and_saveexec_b64 s[12:13], s[10:11]
	s_xor_b64 s[10:11], exec, s[12:13]
	s_cbranch_execz .LBB4_43
; %bb.42:
	v_lshl_add_u64 v[14:15], v[26:27], 3, s[20:21]
	global_load_dwordx2 v[14:15], v[14:15], off
	v_add_u32_e32 v21, 1, v21
	s_waitcnt vmcnt(0)
	v_div_scale_f64 v[18:19], s[12:13], v[12:13], v[12:13], v[14:15]
	v_rcp_f64_e32 v[26:27], v[18:19]
	v_div_scale_f64 v[28:29], vcc, v[14:15], v[12:13], v[14:15]
	v_fma_f64 v[30:31], -v[18:19], v[26:27], 1.0
	v_fmac_f64_e32 v[26:27], v[26:27], v[30:31]
	v_fma_f64 v[30:31], -v[18:19], v[26:27], 1.0
	v_fmac_f64_e32 v[26:27], v[26:27], v[30:31]
	v_mul_f64 v[30:31], v[28:29], v[26:27]
	v_fma_f64 v[18:19], -v[18:19], v[30:31], v[28:29]
	v_div_fmas_f64 v[18:19], v[18:19], v[26:27], v[30:31]
	v_div_fixup_f64 v[12:13], v[18:19], v[12:13], v[14:15]
	v_add_f64 v[24:25], v[24:25], v[12:13]
.LBB4_43:
	s_or_b64 exec, exec, s[10:11]
.LBB4_44:
	s_or_b64 exec, exec, s[8:9]
.LBB4_45:
	s_or_b64 exec, exec, s[6:7]
	v_add_u32_e32 v12, v23, v37
	v_mov_b32_e32 v13, 0
	v_lshl_add_u64 v[14:15], v[12:13], 2, s[2:3]
	global_load_dword v14, v[14:15], off
	s_waitcnt vmcnt(0)
	v_cmp_lt_i32_e32 vcc, 0, v14
	s_and_saveexec_b64 s[6:7], vcc
	s_xor_b64 s[6:7], exec, s[6:7]
	s_cbranch_execz .LBB4_49
; %bb.46:
	v_cmp_eq_u32_e32 vcc, v34, v14
	s_and_saveexec_b64 s[8:9], vcc
	s_cbranch_execz .LBB4_48
; %bb.47:
	v_lshl_add_u64 v[12:13], v[12:13], 3, s[18:19]
	global_load_dwordx2 v[12:13], v[12:13], off
	v_add_u32_e32 v21, 1, v21
	s_waitcnt vmcnt(0)
	v_div_scale_f64 v[14:15], s[10:11], v[10:11], v[10:11], v[12:13]
	v_rcp_f64_e32 v[18:19], v[14:15]
	v_div_scale_f64 v[26:27], vcc, v[12:13], v[10:11], v[12:13]
	v_fma_f64 v[28:29], -v[14:15], v[18:19], 1.0
	v_fmac_f64_e32 v[18:19], v[18:19], v[28:29]
	v_fma_f64 v[28:29], -v[14:15], v[18:19], 1.0
	v_fmac_f64_e32 v[18:19], v[18:19], v[28:29]
	v_mul_f64 v[28:29], v[26:27], v[18:19]
	v_fma_f64 v[14:15], -v[14:15], v[28:29], v[26:27]
	v_div_fmas_f64 v[14:15], v[14:15], v[18:19], v[28:29]
	v_div_fixup_f64 v[10:11], v[14:15], v[10:11], v[12:13]
	v_add_f64 v[24:25], v[24:25], v[10:11]
.LBB4_48:
	s_or_b64 exec, exec, s[8:9]
                                        ; implicit-def: $vgpr14
                                        ; implicit-def: $vgpr10_vgpr11
.LBB4_49:
	s_andn2_saveexec_b64 s[6:7], s[6:7]
	s_cbranch_execz .LBB4_59
; %bb.50:
	v_sub_u32_e32 v12, 0, v14
	v_mov_b32_e32 v13, 0
	v_lshl_add_u64 v[18:19], v[12:13], 2, s[22:23]
	v_sub_u32_e32 v12, 1, v14
	v_ashrrev_i32_e32 v13, 31, v12
	v_lshl_add_u64 v[14:15], v[12:13], 2, s[22:23]
	global_load_dword v12, v[18:19], off
	global_load_dword v20, v[14:15], off
	s_waitcnt vmcnt(0)
	v_cmp_lt_i32_e32 vcc, v12, v20
	s_and_saveexec_b64 s[8:9], vcc
	s_cbranch_execz .LBB4_58
; %bb.51:
	v_ashrrev_i32_e32 v13, 31, v12
	v_lshl_add_u64 v[14:15], v[12:13], 2, s[16:17]
	s_mov_b64 s[12:13], 0
                                        ; implicit-def: $sgpr10_sgpr11
                                        ; implicit-def: $sgpr24_sgpr25
                                        ; implicit-def: $sgpr14_sgpr15
	s_branch .LBB4_53
.LBB4_52:                               ;   in Loop: Header=BB4_53 Depth=1
	s_or_b64 exec, exec, s[26:27]
	s_and_b64 s[26:27], exec, s[24:25]
	s_or_b64 s[12:13], s[26:27], s[12:13]
	s_andn2_b64 s[10:11], s[10:11], exec
	s_and_b64 s[26:27], s[14:15], exec
	s_or_b64 s[10:11], s[10:11], s[26:27]
	s_andn2_b64 exec, exec, s[12:13]
	s_cbranch_execz .LBB4_55
.LBB4_53:                               ; =>This Inner Loop Header: Depth=1
	global_load_dword v26, v[14:15], off
	v_mov_b64_e32 v[18:19], v[12:13]
	s_or_b64 s[14:15], s[14:15], exec
	s_or_b64 s[24:25], s[24:25], exec
                                        ; implicit-def: $vgpr12_vgpr13
	s_waitcnt vmcnt(0)
	v_cmp_ne_u32_e32 vcc, v26, v35
	s_and_saveexec_b64 s[26:27], vcc
	s_cbranch_execz .LBB4_52
; %bb.54:                               ;   in Loop: Header=BB4_53 Depth=1
	v_lshl_add_u64 v[12:13], v[18:19], 0, 1
	v_cmp_ge_i32_e32 vcc, v12, v20
	s_andn2_b64 s[24:25], s[24:25], exec
	s_and_b64 s[28:29], vcc, exec
	v_lshl_add_u64 v[14:15], v[14:15], 0, 4
	s_andn2_b64 s[14:15], s[14:15], exec
	s_or_b64 s[24:25], s[24:25], s[28:29]
	s_branch .LBB4_52
.LBB4_55:
	s_or_b64 exec, exec, s[12:13]
	s_and_saveexec_b64 s[12:13], s[10:11]
	s_xor_b64 s[10:11], exec, s[12:13]
	s_cbranch_execz .LBB4_57
; %bb.56:
	v_lshl_add_u64 v[12:13], v[18:19], 3, s[20:21]
	global_load_dwordx2 v[12:13], v[12:13], off
	v_add_u32_e32 v21, 1, v21
	s_waitcnt vmcnt(0)
	v_div_scale_f64 v[14:15], s[12:13], v[10:11], v[10:11], v[12:13]
	v_rcp_f64_e32 v[18:19], v[14:15]
	v_div_scale_f64 v[26:27], vcc, v[12:13], v[10:11], v[12:13]
	v_fma_f64 v[28:29], -v[14:15], v[18:19], 1.0
	v_fmac_f64_e32 v[18:19], v[18:19], v[28:29]
	v_fma_f64 v[28:29], -v[14:15], v[18:19], 1.0
	v_fmac_f64_e32 v[18:19], v[18:19], v[28:29]
	v_mul_f64 v[28:29], v[26:27], v[18:19]
	v_fma_f64 v[14:15], -v[14:15], v[28:29], v[26:27]
	v_div_fmas_f64 v[14:15], v[14:15], v[18:19], v[28:29]
	v_div_fixup_f64 v[10:11], v[14:15], v[10:11], v[12:13]
	v_add_f64 v[24:25], v[24:25], v[10:11]
.LBB4_57:
	s_or_b64 exec, exec, s[10:11]
.LBB4_58:
	s_or_b64 exec, exec, s[8:9]
.LBB4_59:
	s_or_b64 exec, exec, s[6:7]
	v_mov_b32_e32 v13, 0
	v_mov_b32_e32 v12, v16
	v_lshl_add_u64 v[10:11], v[12:13], 3, s[18:19]
	global_load_dwordx2 v[14:15], v[10:11], off
	v_lshl_add_u64 v[12:13], v[12:13], 2, s[2:3]
	global_load_dword v12, v[12:13], off offset:4
	v_add_u32_e32 v18, 1, v21
	s_waitcnt vmcnt(1)
	v_div_scale_f64 v[26:27], s[6:7], v[8:9], v[8:9], v[14:15]
	v_rcp_f64_e32 v[28:29], v[26:27]
	v_div_scale_f64 v[30:31], vcc, v[14:15], v[8:9], v[14:15]
	v_fma_f64 v[32:33], -v[26:27], v[28:29], 1.0
	v_fmac_f64_e32 v[28:29], v[28:29], v[32:33]
	v_fma_f64 v[32:33], -v[26:27], v[28:29], 1.0
	v_fmac_f64_e32 v[28:29], v[28:29], v[32:33]
	v_mul_f64 v[32:33], v[30:31], v[28:29]
	v_fma_f64 v[26:27], -v[26:27], v[32:33], v[30:31]
	v_div_fmas_f64 v[26:27], v[26:27], v[28:29], v[32:33]
	v_div_fixup_f64 v[8:9], v[26:27], v[8:9], v[14:15]
	v_add_f64 v[8:9], v[24:25], v[8:9]
	s_waitcnt vmcnt(0)
	v_cmp_lt_i32_e32 vcc, 0, v12
	s_and_saveexec_b64 s[6:7], vcc
	s_xor_b64 s[6:7], exec, s[6:7]
	s_cbranch_execz .LBB4_63
; %bb.60:
	v_cmp_eq_u32_e32 vcc, v34, v12
	s_and_saveexec_b64 s[8:9], vcc
	s_cbranch_execz .LBB4_62
; %bb.61:
	global_load_dwordx2 v[10:11], v[10:11], off offset:8
	s_waitcnt vmcnt(0)
	v_div_scale_f64 v[12:13], s[10:11], v[6:7], v[6:7], v[10:11]
	v_rcp_f64_e32 v[14:15], v[12:13]
	v_div_scale_f64 v[18:19], vcc, v[10:11], v[6:7], v[10:11]
	v_fma_f64 v[24:25], -v[12:13], v[14:15], 1.0
	v_fmac_f64_e32 v[14:15], v[14:15], v[24:25]
	v_fma_f64 v[24:25], -v[12:13], v[14:15], 1.0
	v_fmac_f64_e32 v[14:15], v[14:15], v[24:25]
	v_mul_f64 v[24:25], v[18:19], v[14:15]
	v_fma_f64 v[12:13], -v[12:13], v[24:25], v[18:19]
	v_div_fmas_f64 v[12:13], v[12:13], v[14:15], v[24:25]
	v_div_fixup_f64 v[6:7], v[12:13], v[6:7], v[10:11]
	v_add_f64 v[8:9], v[8:9], v[6:7]
	v_add_u32_e32 v18, 2, v21
.LBB4_62:
	s_or_b64 exec, exec, s[8:9]
                                        ; implicit-def: $vgpr12
                                        ; implicit-def: $vgpr6_vgpr7
                                        ; implicit-def: $vgpr21
.LBB4_63:
	s_andn2_saveexec_b64 s[6:7], s[6:7]
	s_cbranch_execz .LBB4_73
; %bb.64:
	v_sub_u32_e32 v10, 0, v12
	v_mov_b32_e32 v11, 0
	v_lshl_add_u64 v[14:15], v[10:11], 2, s[22:23]
	v_sub_u32_e32 v10, 1, v12
	v_ashrrev_i32_e32 v11, 31, v10
	v_lshl_add_u64 v[12:13], v[10:11], 2, s[22:23]
	global_load_dword v10, v[14:15], off
	global_load_dword v19, v[12:13], off
	s_waitcnt vmcnt(0)
	v_cmp_lt_i32_e32 vcc, v10, v19
	s_and_saveexec_b64 s[8:9], vcc
	s_cbranch_execz .LBB4_72
; %bb.65:
	v_ashrrev_i32_e32 v11, 31, v10
	v_lshl_add_u64 v[12:13], v[10:11], 2, s[16:17]
	s_mov_b64 s[12:13], 0
                                        ; implicit-def: $sgpr10_sgpr11
                                        ; implicit-def: $sgpr24_sgpr25
                                        ; implicit-def: $sgpr14_sgpr15
	s_branch .LBB4_67
.LBB4_66:                               ;   in Loop: Header=BB4_67 Depth=1
	s_or_b64 exec, exec, s[26:27]
	s_and_b64 s[26:27], exec, s[24:25]
	s_or_b64 s[12:13], s[26:27], s[12:13]
	s_andn2_b64 s[10:11], s[10:11], exec
	s_and_b64 s[26:27], s[14:15], exec
	s_or_b64 s[10:11], s[10:11], s[26:27]
	s_andn2_b64 exec, exec, s[12:13]
	s_cbranch_execz .LBB4_69
.LBB4_67:                               ; =>This Inner Loop Header: Depth=1
	global_load_dword v20, v[12:13], off
	v_mov_b64_e32 v[14:15], v[10:11]
	s_or_b64 s[14:15], s[14:15], exec
	s_or_b64 s[24:25], s[24:25], exec
                                        ; implicit-def: $vgpr10_vgpr11
	s_waitcnt vmcnt(0)
	v_cmp_ne_u32_e32 vcc, v20, v35
	s_and_saveexec_b64 s[26:27], vcc
	s_cbranch_execz .LBB4_66
; %bb.68:                               ;   in Loop: Header=BB4_67 Depth=1
	v_lshl_add_u64 v[10:11], v[14:15], 0, 1
	v_cmp_ge_i32_e32 vcc, v10, v19
	s_andn2_b64 s[24:25], s[24:25], exec
	s_and_b64 s[28:29], vcc, exec
	v_lshl_add_u64 v[12:13], v[12:13], 0, 4
	s_andn2_b64 s[14:15], s[14:15], exec
	s_or_b64 s[24:25], s[24:25], s[28:29]
	s_branch .LBB4_66
.LBB4_69:
	s_or_b64 exec, exec, s[12:13]
	s_and_saveexec_b64 s[12:13], s[10:11]
	s_xor_b64 s[10:11], exec, s[12:13]
	s_cbranch_execz .LBB4_71
; %bb.70:
	v_lshl_add_u64 v[10:11], v[14:15], 3, s[20:21]
	global_load_dwordx2 v[10:11], v[10:11], off
	s_waitcnt vmcnt(0)
	v_div_scale_f64 v[12:13], s[12:13], v[6:7], v[6:7], v[10:11]
	v_rcp_f64_e32 v[14:15], v[12:13]
	v_div_scale_f64 v[18:19], vcc, v[10:11], v[6:7], v[10:11]
	v_fma_f64 v[24:25], -v[12:13], v[14:15], 1.0
	v_fmac_f64_e32 v[14:15], v[14:15], v[24:25]
	v_fma_f64 v[24:25], -v[12:13], v[14:15], 1.0
	v_fmac_f64_e32 v[14:15], v[14:15], v[24:25]
	v_mul_f64 v[24:25], v[18:19], v[14:15]
	v_fma_f64 v[12:13], -v[12:13], v[24:25], v[18:19]
	v_div_fmas_f64 v[12:13], v[12:13], v[14:15], v[24:25]
	v_div_fixup_f64 v[6:7], v[12:13], v[6:7], v[10:11]
	v_add_f64 v[8:9], v[8:9], v[6:7]
	v_add_u32_e32 v18, 2, v21
.LBB4_71:
	s_or_b64 exec, exec, s[10:11]
.LBB4_72:
	s_or_b64 exec, exec, s[8:9]
.LBB4_73:
	s_or_b64 exec, exec, s[6:7]
	v_add_u32_e32 v6, v23, v36
	v_mov_b32_e32 v7, 0
	v_lshl_add_u64 v[10:11], v[6:7], 2, s[2:3]
	global_load_dword v10, v[10:11], off
	s_waitcnt vmcnt(0)
	v_cmp_lt_i32_e32 vcc, 0, v10
	s_and_saveexec_b64 s[6:7], vcc
	s_xor_b64 s[6:7], exec, s[6:7]
	s_cbranch_execz .LBB4_77
; %bb.74:
	v_cmp_eq_u32_e32 vcc, v34, v10
	s_and_saveexec_b64 s[8:9], vcc
	s_cbranch_execz .LBB4_76
; %bb.75:
	v_lshl_add_u64 v[6:7], v[6:7], 3, s[18:19]
	global_load_dwordx2 v[6:7], v[6:7], off
	v_add_u32_e32 v18, 1, v18
	s_waitcnt vmcnt(0)
	v_div_scale_f64 v[10:11], s[10:11], v[4:5], v[4:5], v[6:7]
	v_rcp_f64_e32 v[12:13], v[10:11]
	v_div_scale_f64 v[14:15], vcc, v[6:7], v[4:5], v[6:7]
	v_fma_f64 v[20:21], -v[10:11], v[12:13], 1.0
	v_fmac_f64_e32 v[12:13], v[12:13], v[20:21]
	v_fma_f64 v[20:21], -v[10:11], v[12:13], 1.0
	v_fmac_f64_e32 v[12:13], v[12:13], v[20:21]
	v_mul_f64 v[20:21], v[14:15], v[12:13]
	v_fma_f64 v[10:11], -v[10:11], v[20:21], v[14:15]
	v_div_fmas_f64 v[10:11], v[10:11], v[12:13], v[20:21]
	v_div_fixup_f64 v[4:5], v[10:11], v[4:5], v[6:7]
	v_add_f64 v[8:9], v[8:9], v[4:5]
.LBB4_76:
	s_or_b64 exec, exec, s[8:9]
                                        ; implicit-def: $vgpr10
                                        ; implicit-def: $vgpr4_vgpr5
.LBB4_77:
	s_andn2_saveexec_b64 s[6:7], s[6:7]
	s_cbranch_execz .LBB4_87
; %bb.78:
	v_sub_u32_e32 v6, 0, v10
	v_mov_b32_e32 v7, 0
	v_lshl_add_u64 v[12:13], v[6:7], 2, s[22:23]
	v_sub_u32_e32 v6, 1, v10
	v_ashrrev_i32_e32 v7, 31, v6
	v_lshl_add_u64 v[10:11], v[6:7], 2, s[22:23]
	global_load_dword v6, v[12:13], off
	global_load_dword v14, v[10:11], off
	s_waitcnt vmcnt(0)
	v_cmp_lt_i32_e32 vcc, v6, v14
	s_and_saveexec_b64 s[8:9], vcc
	s_cbranch_execz .LBB4_86
; %bb.79:
	v_ashrrev_i32_e32 v7, 31, v6
	v_lshl_add_u64 v[10:11], v[6:7], 2, s[16:17]
	s_mov_b64 s[12:13], 0
                                        ; implicit-def: $sgpr10_sgpr11
                                        ; implicit-def: $sgpr24_sgpr25
                                        ; implicit-def: $sgpr14_sgpr15
	s_branch .LBB4_81
.LBB4_80:                               ;   in Loop: Header=BB4_81 Depth=1
	s_or_b64 exec, exec, s[26:27]
	s_and_b64 s[26:27], exec, s[24:25]
	s_or_b64 s[12:13], s[26:27], s[12:13]
	s_andn2_b64 s[10:11], s[10:11], exec
	s_and_b64 s[26:27], s[14:15], exec
	s_or_b64 s[10:11], s[10:11], s[26:27]
	s_andn2_b64 exec, exec, s[12:13]
	s_cbranch_execz .LBB4_83
.LBB4_81:                               ; =>This Inner Loop Header: Depth=1
	global_load_dword v15, v[10:11], off
	v_mov_b64_e32 v[12:13], v[6:7]
	s_or_b64 s[14:15], s[14:15], exec
	s_or_b64 s[24:25], s[24:25], exec
                                        ; implicit-def: $vgpr6_vgpr7
	s_waitcnt vmcnt(0)
	v_cmp_ne_u32_e32 vcc, v15, v35
	s_and_saveexec_b64 s[26:27], vcc
	s_cbranch_execz .LBB4_80
; %bb.82:                               ;   in Loop: Header=BB4_81 Depth=1
	v_lshl_add_u64 v[6:7], v[12:13], 0, 1
	v_cmp_ge_i32_e32 vcc, v6, v14
	s_andn2_b64 s[24:25], s[24:25], exec
	s_and_b64 s[28:29], vcc, exec
	v_lshl_add_u64 v[10:11], v[10:11], 0, 4
	s_andn2_b64 s[14:15], s[14:15], exec
	s_or_b64 s[24:25], s[24:25], s[28:29]
	s_branch .LBB4_80
.LBB4_83:
	s_or_b64 exec, exec, s[12:13]
	s_and_saveexec_b64 s[12:13], s[10:11]
	s_xor_b64 s[10:11], exec, s[12:13]
	s_cbranch_execz .LBB4_85
; %bb.84:
	v_lshl_add_u64 v[6:7], v[12:13], 3, s[20:21]
	global_load_dwordx2 v[6:7], v[6:7], off
	v_add_u32_e32 v18, 1, v18
	s_waitcnt vmcnt(0)
	v_div_scale_f64 v[10:11], s[12:13], v[4:5], v[4:5], v[6:7]
	v_rcp_f64_e32 v[12:13], v[10:11]
	v_div_scale_f64 v[14:15], vcc, v[6:7], v[4:5], v[6:7]
	v_fma_f64 v[20:21], -v[10:11], v[12:13], 1.0
	v_fmac_f64_e32 v[12:13], v[12:13], v[20:21]
	v_fma_f64 v[20:21], -v[10:11], v[12:13], 1.0
	v_fmac_f64_e32 v[12:13], v[12:13], v[20:21]
	v_mul_f64 v[20:21], v[14:15], v[12:13]
	v_fma_f64 v[10:11], -v[10:11], v[20:21], v[14:15]
	v_div_fmas_f64 v[10:11], v[10:11], v[12:13], v[20:21]
	v_div_fixup_f64 v[4:5], v[10:11], v[4:5], v[6:7]
	v_add_f64 v[8:9], v[8:9], v[4:5]
.LBB4_85:
	s_or_b64 exec, exec, s[10:11]
.LBB4_86:
	s_or_b64 exec, exec, s[8:9]
.LBB4_87:
	s_or_b64 exec, exec, s[6:7]
	v_mov_b32_e32 v23, 0
	v_lshl_add_u64 v[4:5], v[22:23], 2, s[2:3]
	global_load_dword v6, v[4:5], off
	s_waitcnt vmcnt(0)
	v_cmp_lt_i32_e32 vcc, 0, v6
	s_and_saveexec_b64 s[6:7], vcc
	s_xor_b64 s[6:7], exec, s[6:7]
	s_cbranch_execz .LBB4_91
; %bb.88:
	v_cmp_eq_u32_e32 vcc, v34, v6
	s_and_saveexec_b64 s[8:9], vcc
	s_cbranch_execz .LBB4_90
; %bb.89:
	v_lshl_add_u64 v[6:7], v[22:23], 3, s[18:19]
	global_load_dwordx2 v[6:7], v[6:7], off
	v_add_u32_e32 v18, 1, v18
	s_waitcnt vmcnt(0)
	v_div_scale_f64 v[10:11], s[10:11], v[2:3], v[2:3], v[6:7]
	v_rcp_f64_e32 v[12:13], v[10:11]
	v_div_scale_f64 v[14:15], vcc, v[6:7], v[2:3], v[6:7]
	v_fma_f64 v[20:21], -v[10:11], v[12:13], 1.0
	v_fmac_f64_e32 v[12:13], v[12:13], v[20:21]
	v_fma_f64 v[20:21], -v[10:11], v[12:13], 1.0
	v_fmac_f64_e32 v[12:13], v[12:13], v[20:21]
	v_mul_f64 v[20:21], v[14:15], v[12:13]
	v_fma_f64 v[10:11], -v[10:11], v[20:21], v[14:15]
	v_div_fmas_f64 v[10:11], v[10:11], v[12:13], v[20:21]
	v_div_fixup_f64 v[2:3], v[10:11], v[2:3], v[6:7]
	v_add_f64 v[8:9], v[8:9], v[2:3]
.LBB4_90:
	s_or_b64 exec, exec, s[8:9]
                                        ; implicit-def: $vgpr6
                                        ; implicit-def: $vgpr2_vgpr3
.LBB4_91:
	s_andn2_saveexec_b64 s[6:7], s[6:7]
	s_cbranch_execz .LBB4_101
; %bb.92:
	v_sub_u32_e32 v10, 0, v6
	v_mov_b32_e32 v11, 0
	v_sub_u32_e32 v6, 1, v6
	v_lshl_add_u64 v[10:11], v[10:11], 2, s[22:23]
	v_ashrrev_i32_e32 v7, 31, v6
	v_lshl_add_u64 v[12:13], v[6:7], 2, s[22:23]
	global_load_dword v6, v[10:11], off
	global_load_dword v14, v[12:13], off
	s_waitcnt vmcnt(0)
	v_cmp_lt_i32_e32 vcc, v6, v14
	s_and_saveexec_b64 s[8:9], vcc
	s_cbranch_execz .LBB4_100
; %bb.93:
	v_ashrrev_i32_e32 v7, 31, v6
	v_lshl_add_u64 v[10:11], v[6:7], 2, s[16:17]
	s_mov_b64 s[12:13], 0
                                        ; implicit-def: $sgpr10_sgpr11
                                        ; implicit-def: $sgpr24_sgpr25
                                        ; implicit-def: $sgpr14_sgpr15
	s_branch .LBB4_95
.LBB4_94:                               ;   in Loop: Header=BB4_95 Depth=1
	s_or_b64 exec, exec, s[26:27]
	s_and_b64 s[26:27], exec, s[24:25]
	s_or_b64 s[12:13], s[26:27], s[12:13]
	s_andn2_b64 s[10:11], s[10:11], exec
	s_and_b64 s[26:27], s[14:15], exec
	s_or_b64 s[10:11], s[10:11], s[26:27]
	s_andn2_b64 exec, exec, s[12:13]
	s_cbranch_execz .LBB4_97
.LBB4_95:                               ; =>This Inner Loop Header: Depth=1
	global_load_dword v15, v[10:11], off
	v_mov_b64_e32 v[12:13], v[6:7]
	s_or_b64 s[14:15], s[14:15], exec
	s_or_b64 s[24:25], s[24:25], exec
                                        ; implicit-def: $vgpr6_vgpr7
	s_waitcnt vmcnt(0)
	v_cmp_ne_u32_e32 vcc, v15, v35
	s_and_saveexec_b64 s[26:27], vcc
	s_cbranch_execz .LBB4_94
; %bb.96:                               ;   in Loop: Header=BB4_95 Depth=1
	v_lshl_add_u64 v[6:7], v[12:13], 0, 1
	v_cmp_ge_i32_e32 vcc, v6, v14
	s_andn2_b64 s[24:25], s[24:25], exec
	s_and_b64 s[28:29], vcc, exec
	v_lshl_add_u64 v[10:11], v[10:11], 0, 4
	s_andn2_b64 s[14:15], s[14:15], exec
	s_or_b64 s[24:25], s[24:25], s[28:29]
	s_branch .LBB4_94
.LBB4_97:
	s_or_b64 exec, exec, s[12:13]
	s_and_saveexec_b64 s[12:13], s[10:11]
	s_xor_b64 s[10:11], exec, s[12:13]
	s_cbranch_execz .LBB4_99
; %bb.98:
	v_lshl_add_u64 v[6:7], v[12:13], 3, s[20:21]
	global_load_dwordx2 v[6:7], v[6:7], off
	v_add_u32_e32 v18, 1, v18
	s_waitcnt vmcnt(0)
	v_div_scale_f64 v[10:11], s[12:13], v[2:3], v[2:3], v[6:7]
	v_rcp_f64_e32 v[12:13], v[10:11]
	v_div_scale_f64 v[14:15], vcc, v[6:7], v[2:3], v[6:7]
	v_fma_f64 v[20:21], -v[10:11], v[12:13], 1.0
	v_fmac_f64_e32 v[12:13], v[12:13], v[20:21]
	v_fma_f64 v[20:21], -v[10:11], v[12:13], 1.0
	v_fmac_f64_e32 v[12:13], v[12:13], v[20:21]
	v_mul_f64 v[20:21], v[14:15], v[12:13]
	v_fma_f64 v[10:11], -v[10:11], v[20:21], v[14:15]
	v_div_fmas_f64 v[10:11], v[10:11], v[12:13], v[20:21]
	v_div_fixup_f64 v[2:3], v[10:11], v[2:3], v[6:7]
	v_add_f64 v[8:9], v[8:9], v[2:3]
.LBB4_99:
	s_or_b64 exec, exec, s[10:11]
.LBB4_100:
	s_or_b64 exec, exec, s[8:9]
.LBB4_101:
	s_or_b64 exec, exec, s[6:7]
	global_load_dword v2, v[4:5], off offset:4
	s_load_dwordx2 s[6:7], s[0:1], 0x28
	s_waitcnt vmcnt(0)
	v_cmp_lt_i32_e32 vcc, 0, v2
	s_and_saveexec_b64 s[8:9], vcc
	s_xor_b64 s[8:9], exec, s[8:9]
	s_cbranch_execz .LBB4_105
; %bb.102:
	v_cmp_eq_u32_e32 vcc, v34, v2
	s_and_saveexec_b64 s[10:11], vcc
	s_cbranch_execz .LBB4_104
; %bb.103:
	v_lshl_add_u64 v[2:3], v[22:23], 3, s[18:19]
	global_load_dwordx2 v[2:3], v[2:3], off offset:8
	v_add_u32_e32 v18, 1, v18
	s_waitcnt vmcnt(0)
	v_div_scale_f64 v[4:5], s[12:13], v[0:1], v[0:1], v[2:3]
	v_rcp_f64_e32 v[6:7], v[4:5]
	v_div_scale_f64 v[10:11], vcc, v[2:3], v[0:1], v[2:3]
	v_fma_f64 v[12:13], -v[4:5], v[6:7], 1.0
	v_fmac_f64_e32 v[6:7], v[6:7], v[12:13]
	v_fma_f64 v[12:13], -v[4:5], v[6:7], 1.0
	v_fmac_f64_e32 v[6:7], v[6:7], v[12:13]
	v_mul_f64 v[12:13], v[10:11], v[6:7]
	v_fma_f64 v[4:5], -v[4:5], v[12:13], v[10:11]
	v_div_fmas_f64 v[4:5], v[4:5], v[6:7], v[12:13]
	v_div_fixup_f64 v[0:1], v[4:5], v[0:1], v[2:3]
	v_add_f64 v[8:9], v[8:9], v[0:1]
.LBB4_104:
	s_or_b64 exec, exec, s[10:11]
                                        ; implicit-def: $vgpr2
                                        ; implicit-def: $vgpr0_vgpr1
                                        ; implicit-def: $vgpr35
.LBB4_105:
	s_andn2_saveexec_b64 s[8:9], s[8:9]
	s_cbranch_execz .LBB4_115
; %bb.106:
	v_sub_u32_e32 v4, 0, v2
	v_mov_b32_e32 v5, 0
	v_sub_u32_e32 v2, 1, v2
	v_lshl_add_u64 v[4:5], v[4:5], 2, s[22:23]
	v_ashrrev_i32_e32 v3, 31, v2
	v_lshl_add_u64 v[6:7], v[2:3], 2, s[22:23]
	global_load_dword v2, v[4:5], off
	global_load_dword v10, v[6:7], off
	s_waitcnt vmcnt(0)
	v_cmp_lt_i32_e32 vcc, v2, v10
	s_and_saveexec_b64 s[10:11], vcc
	s_cbranch_execz .LBB4_114
; %bb.107:
	v_ashrrev_i32_e32 v3, 31, v2
	v_lshl_add_u64 v[4:5], v[2:3], 2, s[16:17]
	s_mov_b64 s[14:15], 0
                                        ; implicit-def: $sgpr12_sgpr13
                                        ; implicit-def: $sgpr26_sgpr27
                                        ; implicit-def: $sgpr24_sgpr25
	s_branch .LBB4_109
.LBB4_108:                              ;   in Loop: Header=BB4_109 Depth=1
	s_or_b64 exec, exec, s[28:29]
	s_and_b64 s[28:29], exec, s[26:27]
	s_or_b64 s[14:15], s[28:29], s[14:15]
	s_andn2_b64 s[12:13], s[12:13], exec
	s_and_b64 s[28:29], s[24:25], exec
	s_or_b64 s[12:13], s[12:13], s[28:29]
	s_andn2_b64 exec, exec, s[14:15]
	s_cbranch_execz .LBB4_111
.LBB4_109:                              ; =>This Inner Loop Header: Depth=1
	global_load_dword v11, v[4:5], off
	v_mov_b64_e32 v[6:7], v[2:3]
	s_or_b64 s[24:25], s[24:25], exec
	s_or_b64 s[26:27], s[26:27], exec
                                        ; implicit-def: $vgpr2_vgpr3
	s_waitcnt vmcnt(0)
	v_cmp_ne_u32_e32 vcc, v11, v35
	s_and_saveexec_b64 s[28:29], vcc
	s_cbranch_execz .LBB4_108
; %bb.110:                              ;   in Loop: Header=BB4_109 Depth=1
	v_lshl_add_u64 v[2:3], v[6:7], 0, 1
	v_cmp_ge_i32_e32 vcc, v2, v10
	s_andn2_b64 s[26:27], s[26:27], exec
	s_and_b64 s[30:31], vcc, exec
	v_lshl_add_u64 v[4:5], v[4:5], 0, 4
	s_andn2_b64 s[24:25], s[24:25], exec
	s_or_b64 s[26:27], s[26:27], s[30:31]
	s_branch .LBB4_108
.LBB4_111:
	s_or_b64 exec, exec, s[14:15]
	s_and_saveexec_b64 s[14:15], s[12:13]
	s_xor_b64 s[12:13], exec, s[14:15]
	s_cbranch_execz .LBB4_113
; %bb.112:
	v_lshl_add_u64 v[2:3], v[6:7], 3, s[20:21]
	global_load_dwordx2 v[2:3], v[2:3], off
	v_add_u32_e32 v18, 1, v18
	s_waitcnt vmcnt(0)
	v_div_scale_f64 v[4:5], s[14:15], v[0:1], v[0:1], v[2:3]
	v_rcp_f64_e32 v[6:7], v[4:5]
	v_div_scale_f64 v[10:11], vcc, v[2:3], v[0:1], v[2:3]
	v_fma_f64 v[12:13], -v[4:5], v[6:7], 1.0
	v_fmac_f64_e32 v[6:7], v[6:7], v[12:13]
	v_fma_f64 v[12:13], -v[4:5], v[6:7], 1.0
	v_fmac_f64_e32 v[6:7], v[6:7], v[12:13]
	v_mul_f64 v[12:13], v[10:11], v[6:7]
	v_fma_f64 v[4:5], -v[4:5], v[12:13], v[10:11]
	v_div_fmas_f64 v[4:5], v[4:5], v[6:7], v[12:13]
	v_div_fixup_f64 v[0:1], v[4:5], v[0:1], v[2:3]
	v_add_f64 v[8:9], v[8:9], v[0:1]
.LBB4_113:
	s_or_b64 exec, exec, s[12:13]
.LBB4_114:
	s_or_b64 exec, exec, s[10:11]
.LBB4_115:
	s_or_b64 exec, exec, s[8:9]
	v_cvt_f64_u32_e32 v[0:1], v18
	v_div_scale_f64 v[2:3], s[8:9], v[0:1], v[0:1], v[8:9]
	v_rcp_f64_e32 v[4:5], v[2:3]
	v_div_scale_f64 v[6:7], vcc, v[8:9], v[0:1], v[8:9]
                                        ; implicit-def: $vgpr18_vgpr19
                                        ; implicit-def: $vgpr14_vgpr15
                                        ; implicit-def: $vgpr12_vgpr13
                                        ; implicit-def: $vgpr32_vgpr33
                                        ; implicit-def: $vgpr34
                                        ; implicit-def: $vgpr24_vgpr25
                                        ; implicit-def: $vgpr26_vgpr27
                                        ; implicit-def: $vgpr28_vgpr29
                                        ; implicit-def: $vgpr30_vgpr31
                                        ; implicit-def: $vgpr22_vgpr23
	v_fma_f64 v[10:11], -v[2:3], v[4:5], 1.0
	v_fmac_f64_e32 v[4:5], v[4:5], v[10:11]
	v_fma_f64 v[10:11], -v[2:3], v[4:5], 1.0
	v_fmac_f64_e32 v[4:5], v[4:5], v[10:11]
	v_mul_f64 v[10:11], v[6:7], v[4:5]
	v_fma_f64 v[2:3], -v[2:3], v[10:11], v[6:7]
	v_div_fmas_f64 v[2:3], v[2:3], v[4:5], v[10:11]
	v_div_fixup_f64 v[0:1], v[2:3], v[0:1], v[8:9]
	s_waitcnt lgkmcnt(0)
	v_lshl_add_u64 v[2:3], v[16:17], 3, s[6:7]
	global_store_dwordx2 v[2:3], v[0:1], off
                                        ; implicit-def: $vgpr10_vgpr11
                                        ; implicit-def: $vgpr8_vgpr9
                                        ; implicit-def: $vgpr6_vgpr7
                                        ; implicit-def: $vgpr4_vgpr5
                                        ; implicit-def: $vgpr2_vgpr3
                                        ; implicit-def: $vgpr0_vgpr1
                                        ; implicit-def: $vgpr16_vgpr17
.LBB4_116:
	s_andn2_saveexec_b64 s[4:5], s[4:5]
	s_cbranch_execz .LBB4_238
; %bb.117:
	v_sub_u32_e32 v66, 0, v34
	v_mov_b32_e32 v67, 0
	v_sub_u32_e32 v20, 1, v34
	v_lshl_add_u64 v[36:37], v[66:67], 2, s[22:23]
	v_ashrrev_i32_e32 v21, 31, v20
	v_lshl_add_u64 v[34:35], v[20:21], 2, s[22:23]
	global_load_dword v20, v[36:37], off
	global_load_dword v76, v[34:35], off
	s_waitcnt vmcnt(0)
	v_cmp_lt_i32_e32 vcc, v20, v76
	s_and_b64 exec, exec, vcc
	s_cbranch_execz .LBB4_238
; %bb.118:
	global_load_dword v60, v[32:33], off offset:4
	v_lshl_add_u64 v[32:33], v[24:25], 2, s[2:3]
	global_load_dword v36, v[32:33], off
	v_lshl_add_u64 v[32:33], v[26:27], 2, s[2:3]
	global_load_dwordx2 v[46:47], v[32:33], off
	v_lshl_add_u64 v[32:33], v[28:29], 2, s[2:3]
	global_load_dword v58, v[32:33], off
	v_lshl_add_u64 v[32:33], v[30:31], 2, s[2:3]
	global_load_dword v62, v[32:33], off
	v_lshl_add_u64 v[32:33], v[22:23], 2, s[2:3]
	global_load_dwordx2 v[68:69], v[32:33], off
	s_load_dwordx2 s[24:25], s[0:1], 0x30
	v_ashrrev_i32_e32 v21, 31, v20
	v_lshl_add_u64 v[24:25], v[24:25], 3, s[18:19]
	v_lshl_add_u64 v[26:27], v[26:27], 3, s[18:19]
	;; [unrolled: 1-line block ×6, first 2 shown]
	v_mov_b64_e32 v[32:33], v[20:21]
	v_lshl_add_u64 v[34:35], v[20:21], 2, s[16:17]
	s_mov_b64 s[18:19], 0
	s_waitcnt vmcnt(5)
	v_cmp_lt_i32_e64 s[0:1], 0, v60
	v_add_u32_e32 v77, -1, v60
	s_waitcnt vmcnt(4)
	v_sub_u32_e32 v66, 0, v36
	v_cmp_lt_i32_e64 s[2:3], 0, v36
	v_add_u32_e32 v78, -1, v36
	v_sub_u32_e32 v40, 1, v36
	s_waitcnt vmcnt(3)
	v_sub_u32_e32 v48, 1, v47
	s_waitcnt vmcnt(2)
	v_sub_u32_e32 v50, 1, v58
	s_waitcnt vmcnt(1)
	v_sub_u32_e32 v52, 1, v62
	v_lshl_add_u64 v[36:37], v[66:67], 2, s[22:23]
	s_waitcnt vmcnt(0)
	v_sub_u32_e32 v54, 1, v68
	v_sub_u32_e32 v56, 1, v69
	;; [unrolled: 1-line block ×3, first 2 shown]
	v_ashrrev_i32_e32 v49, 31, v48
	v_ashrrev_i32_e32 v51, 31, v50
	;; [unrolled: 1-line block ×5, first 2 shown]
	v_lshl_add_u64 v[42:43], v[66:67], 2, s[22:23]
	v_sub_u32_e32 v66, 0, v47
	v_cmp_lt_i32_e64 s[4:5], 0, v46
	v_add_u32_e32 v79, -1, v46
	v_sub_u32_e32 v44, 1, v46
	v_cmp_lt_i32_e64 s[6:7], 0, v47
	v_add_u32_e32 v80, -1, v47
	v_lshl_add_u64 v[46:47], v[48:49], 2, s[22:23]
	v_lshl_add_u64 v[48:49], v[50:51], 2, s[22:23]
	;; [unrolled: 1-line block ×6, first 2 shown]
	v_sub_u32_e32 v66, 0, v58
	v_cmp_lt_i32_e64 s[8:9], 0, v58
	v_add_u32_e32 v81, -1, v58
	v_lshl_add_u64 v[58:59], v[66:67], 2, s[22:23]
	v_sub_u32_e32 v66, 0, v60
	v_sub_u32_e32 v38, 1, v60
	v_lshl_add_u64 v[60:61], v[66:67], 2, s[22:23]
	v_sub_u32_e32 v66, 0, v62
	v_cmp_lt_i32_e64 s[10:11], 0, v62
	v_add_u32_e32 v82, -1, v62
	v_lshl_add_u64 v[62:63], v[66:67], 2, s[22:23]
	v_sub_u32_e32 v66, 0, v68
	v_ashrrev_i32_e32 v39, 31, v38
	v_ashrrev_i32_e32 v41, 31, v40
	;; [unrolled: 1-line block ×3, first 2 shown]
	v_lshl_add_u64 v[64:65], v[66:67], 2, s[22:23]
	v_sub_u32_e32 v66, 0, v69
	v_cmp_lt_i32_e64 s[12:13], 0, v68
	v_add_u32_e32 v83, -1, v68
	v_cmp_lt_i32_e64 s[14:15], 0, v69
	v_add_u32_e32 v84, -1, v69
	v_lshl_add_u64 v[38:39], v[38:39], 2, s[22:23]
	v_lshl_add_u64 v[40:41], v[40:41], 2, s[22:23]
	;; [unrolled: 1-line block ×4, first 2 shown]
	s_branch .LBB4_122
.LBB4_119:                              ;   in Loop: Header=BB4_122 Depth=1
	s_or_b64 exec, exec, s[28:29]
.LBB4_120:                              ;   in Loop: Header=BB4_122 Depth=1
	s_or_b64 exec, exec, s[26:27]
.LBB4_121:                              ;   in Loop: Header=BB4_122 Depth=1
	s_or_b64 exec, exec, s[22:23]
	v_cvt_f64_u32_e32 v[70:71], v86
	v_div_scale_f64 v[72:73], s[22:23], v[70:71], v[70:71], v[68:69]
	v_rcp_f64_e32 v[74:75], v[72:73]
	v_div_scale_f64 v[86:87], vcc, v[68:69], v[70:71], v[68:69]
	v_fma_f64 v[88:89], -v[72:73], v[74:75], 1.0
	v_fmac_f64_e32 v[74:75], v[74:75], v[88:89]
	v_fma_f64 v[88:89], -v[72:73], v[74:75], 1.0
	v_fmac_f64_e32 v[74:75], v[74:75], v[88:89]
	v_mul_f64 v[88:89], v[86:87], v[74:75]
	v_fma_f64 v[72:73], -v[72:73], v[88:89], v[86:87]
	v_div_fmas_f64 v[72:73], v[72:73], v[74:75], v[88:89]
	v_div_fixup_f64 v[68:69], v[72:73], v[70:71], v[68:69]
	s_waitcnt lgkmcnt(0)
	v_lshl_add_u64 v[70:71], v[20:21], 3, s[24:25]
	v_add_u32_e32 v20, 1, v20
	v_cmp_ge_i32_e32 vcc, v20, v76
	s_or_b64 s[18:19], vcc, s[18:19]
	global_store_dwordx2 v[70:71], v[68:69], off
	s_andn2_b64 exec, exec, s[18:19]
	s_cbranch_execz .LBB4_238
.LBB4_122:                              ; =>This Loop Header: Depth=1
                                        ;     Child Loop BB4_136 Depth 2
                                        ;     Child Loop BB4_148 Depth 2
	;; [unrolled: 1-line block ×9, first 2 shown]
	v_ashrrev_i32_e32 v21, 31, v20
	v_lshl_add_u64 v[68:69], v[20:21], 2, s[16:17]
	global_load_dword v85, v[68:69], off
                                        ; implicit-def: $vgpr68_vgpr69
                                        ; implicit-def: $vgpr86
	s_and_saveexec_b64 s[22:23], s[2:3]
	s_xor_b64 s[22:23], exec, s[22:23]
	s_cbranch_execnz .LBB4_130
; %bb.123:                              ;   in Loop: Header=BB4_122 Depth=1
	s_andn2_saveexec_b64 s[22:23], s[22:23]
	s_cbranch_execnz .LBB4_133
.LBB4_124:                              ;   in Loop: Header=BB4_122 Depth=1
	s_or_b64 exec, exec, s[22:23]
	s_and_saveexec_b64 s[22:23], s[4:5]
	s_xor_b64 s[22:23], exec, s[22:23]
	s_cbranch_execnz .LBB4_142
.LBB4_125:                              ;   in Loop: Header=BB4_122 Depth=1
	s_andn2_saveexec_b64 s[22:23], s[22:23]
	s_cbranch_execnz .LBB4_145
.LBB4_126:                              ;   in Loop: Header=BB4_122 Depth=1
	s_or_b64 exec, exec, s[22:23]
	s_and_saveexec_b64 s[22:23], s[6:7]
	s_xor_b64 s[22:23], exec, s[22:23]
	s_cbranch_execnz .LBB4_154
.LBB4_127:                              ;   in Loop: Header=BB4_122 Depth=1
	s_andn2_saveexec_b64 s[22:23], s[22:23]
	s_cbranch_execnz .LBB4_157
.LBB4_128:                              ;   in Loop: Header=BB4_122 Depth=1
	s_or_b64 exec, exec, s[22:23]
	s_and_saveexec_b64 s[22:23], s[8:9]
	s_xor_b64 s[22:23], exec, s[22:23]
	s_cbranch_execnz .LBB4_166
.LBB4_129:                              ;   in Loop: Header=BB4_122 Depth=1
	s_andn2_saveexec_b64 s[22:23], s[22:23]
	s_cbranch_execnz .LBB4_169
	s_branch .LBB4_178
.LBB4_130:                              ;   in Loop: Header=BB4_122 Depth=1
	s_waitcnt vmcnt(0)
	v_cmp_eq_u32_e32 vcc, v85, v78
	v_mov_b32_e32 v86, 0
	v_mov_b64_e32 v[68:69], 0
	s_and_saveexec_b64 s[26:27], vcc
	s_cbranch_execz .LBB4_132
; %bb.131:                              ;   in Loop: Header=BB4_122 Depth=1
	global_load_dwordx2 v[68:69], v[24:25], off
	s_waitcnt vmcnt(0)
	v_div_scale_f64 v[70:71], s[28:29], v[18:19], v[18:19], v[68:69]
	v_rcp_f64_e32 v[72:73], v[70:71]
	v_div_scale_f64 v[74:75], vcc, v[68:69], v[18:19], v[68:69]
	v_fma_f64 v[86:87], -v[70:71], v[72:73], 1.0
	v_fmac_f64_e32 v[72:73], v[72:73], v[86:87]
	v_fma_f64 v[86:87], -v[70:71], v[72:73], 1.0
	v_fmac_f64_e32 v[72:73], v[72:73], v[86:87]
	v_mul_f64 v[86:87], v[74:75], v[72:73]
	v_fma_f64 v[70:71], -v[70:71], v[86:87], v[74:75]
	v_div_fmas_f64 v[70:71], v[70:71], v[72:73], v[86:87]
	v_div_fixup_f64 v[68:69], v[70:71], v[18:19], v[68:69]
	v_add_f64 v[68:69], v[68:69], 0
	v_mov_b32_e32 v86, 1
.LBB4_132:                              ;   in Loop: Header=BB4_122 Depth=1
	s_or_b64 exec, exec, s[26:27]
	s_andn2_saveexec_b64 s[22:23], s[22:23]
	s_cbranch_execz .LBB4_124
.LBB4_133:                              ;   in Loop: Header=BB4_122 Depth=1
	global_load_dword v70, v[36:37], off
	global_load_dword v74, v[40:41], off
	v_mov_b32_e32 v86, 0
	v_mov_b64_e32 v[68:69], 0
	s_waitcnt vmcnt(0)
	v_cmp_lt_i32_e32 vcc, v70, v74
	s_and_saveexec_b64 s[26:27], vcc
	s_cbranch_execz .LBB4_141
; %bb.134:                              ;   in Loop: Header=BB4_122 Depth=1
	v_ashrrev_i32_e32 v71, 31, v70
	v_lshl_add_u64 v[68:69], v[70:71], 2, s[16:17]
	s_mov_b64 s[30:31], 0
                                        ; implicit-def: $sgpr28_sgpr29
                                        ; implicit-def: $sgpr36_sgpr37
                                        ; implicit-def: $sgpr34_sgpr35
	s_branch .LBB4_136
.LBB4_135:                              ;   in Loop: Header=BB4_136 Depth=2
	s_or_b64 exec, exec, s[38:39]
	s_and_b64 s[38:39], exec, s[36:37]
	s_or_b64 s[30:31], s[38:39], s[30:31]
	s_andn2_b64 s[28:29], s[28:29], exec
	s_and_b64 s[38:39], s[34:35], exec
	s_or_b64 s[28:29], s[28:29], s[38:39]
	s_andn2_b64 exec, exec, s[30:31]
	s_cbranch_execz .LBB4_138
.LBB4_136:                              ;   Parent Loop BB4_122 Depth=1
                                        ; =>  This Inner Loop Header: Depth=2
	global_load_dword v75, v[68:69], off
	v_mov_b64_e32 v[72:73], v[70:71]
	s_or_b64 s[34:35], s[34:35], exec
	s_or_b64 s[36:37], s[36:37], exec
                                        ; implicit-def: $vgpr70_vgpr71
	s_waitcnt vmcnt(0)
	v_cmp_ne_u32_e32 vcc, v75, v85
	s_and_saveexec_b64 s[38:39], vcc
	s_cbranch_execz .LBB4_135
; %bb.137:                              ;   in Loop: Header=BB4_136 Depth=2
	v_lshl_add_u64 v[70:71], v[72:73], 0, 1
	v_cmp_ge_i32_e32 vcc, v70, v74
	s_andn2_b64 s[36:37], s[36:37], exec
	s_and_b64 s[40:41], vcc, exec
	v_lshl_add_u64 v[68:69], v[68:69], 0, 4
	s_andn2_b64 s[34:35], s[34:35], exec
	s_or_b64 s[36:37], s[36:37], s[40:41]
	s_branch .LBB4_135
.LBB4_138:                              ;   in Loop: Header=BB4_122 Depth=1
	s_or_b64 exec, exec, s[30:31]
	v_mov_b32_e32 v86, 0
	v_mov_b64_e32 v[68:69], 0
	s_and_saveexec_b64 s[30:31], s[28:29]
	s_xor_b64 s[28:29], exec, s[30:31]
	s_cbranch_execz .LBB4_140
; %bb.139:                              ;   in Loop: Header=BB4_122 Depth=1
	v_lshl_add_u64 v[68:69], v[72:73], 3, s[20:21]
	global_load_dwordx2 v[68:69], v[68:69], off
	s_waitcnt vmcnt(0)
	v_div_scale_f64 v[70:71], s[30:31], v[18:19], v[18:19], v[68:69]
	v_rcp_f64_e32 v[72:73], v[70:71]
	v_div_scale_f64 v[74:75], vcc, v[68:69], v[18:19], v[68:69]
	v_fma_f64 v[86:87], -v[70:71], v[72:73], 1.0
	v_fmac_f64_e32 v[72:73], v[72:73], v[86:87]
	v_fma_f64 v[86:87], -v[70:71], v[72:73], 1.0
	v_fmac_f64_e32 v[72:73], v[72:73], v[86:87]
	v_mul_f64 v[86:87], v[74:75], v[72:73]
	v_fma_f64 v[70:71], -v[70:71], v[86:87], v[74:75]
	v_div_fmas_f64 v[70:71], v[70:71], v[72:73], v[86:87]
	v_div_fixup_f64 v[68:69], v[70:71], v[18:19], v[68:69]
	v_add_f64 v[68:69], v[68:69], 0
	v_mov_b32_e32 v86, 1
.LBB4_140:                              ;   in Loop: Header=BB4_122 Depth=1
	s_or_b64 exec, exec, s[28:29]
.LBB4_141:                              ;   in Loop: Header=BB4_122 Depth=1
	s_or_b64 exec, exec, s[26:27]
	s_or_b64 exec, exec, s[22:23]
	s_and_saveexec_b64 s[22:23], s[4:5]
	s_xor_b64 s[22:23], exec, s[22:23]
	s_cbranch_execz .LBB4_125
.LBB4_142:                              ;   in Loop: Header=BB4_122 Depth=1
	s_waitcnt vmcnt(0)
	v_cmp_eq_u32_e32 vcc, v85, v79
	s_and_saveexec_b64 s[26:27], vcc
	s_cbranch_execz .LBB4_144
; %bb.143:                              ;   in Loop: Header=BB4_122 Depth=1
	global_load_dwordx2 v[70:71], v[26:27], off
	v_add_u32_e32 v86, 1, v86
	s_waitcnt vmcnt(0)
	v_div_scale_f64 v[72:73], s[28:29], v[14:15], v[14:15], v[70:71]
	v_rcp_f64_e32 v[74:75], v[72:73]
	v_div_scale_f64 v[88:89], vcc, v[70:71], v[14:15], v[70:71]
	v_fma_f64 v[90:91], -v[72:73], v[74:75], 1.0
	v_fmac_f64_e32 v[74:75], v[74:75], v[90:91]
	v_fma_f64 v[90:91], -v[72:73], v[74:75], 1.0
	v_fmac_f64_e32 v[74:75], v[74:75], v[90:91]
	v_mul_f64 v[90:91], v[88:89], v[74:75]
	v_fma_f64 v[72:73], -v[72:73], v[90:91], v[88:89]
	v_div_fmas_f64 v[72:73], v[72:73], v[74:75], v[90:91]
	v_div_fixup_f64 v[70:71], v[72:73], v[14:15], v[70:71]
	v_add_f64 v[68:69], v[68:69], v[70:71]
.LBB4_144:                              ;   in Loop: Header=BB4_122 Depth=1
	s_or_b64 exec, exec, s[26:27]
	s_andn2_saveexec_b64 s[22:23], s[22:23]
	s_cbranch_execz .LBB4_126
.LBB4_145:                              ;   in Loop: Header=BB4_122 Depth=1
	global_load_dword v70, v[42:43], off
	global_load_dword v87, v[44:45], off
	s_waitcnt vmcnt(0)
	v_cmp_lt_i32_e32 vcc, v70, v87
	s_and_saveexec_b64 s[26:27], vcc
	s_cbranch_execz .LBB4_153
; %bb.146:                              ;   in Loop: Header=BB4_122 Depth=1
	v_ashrrev_i32_e32 v71, 31, v70
	v_lshl_add_u64 v[72:73], v[70:71], 2, s[16:17]
	s_mov_b64 s[30:31], 0
                                        ; implicit-def: $sgpr28_sgpr29
                                        ; implicit-def: $sgpr36_sgpr37
                                        ; implicit-def: $sgpr34_sgpr35
	s_branch .LBB4_148
.LBB4_147:                              ;   in Loop: Header=BB4_148 Depth=2
	s_or_b64 exec, exec, s[38:39]
	s_and_b64 s[38:39], exec, s[36:37]
	s_or_b64 s[30:31], s[38:39], s[30:31]
	s_andn2_b64 s[28:29], s[28:29], exec
	s_and_b64 s[38:39], s[34:35], exec
	s_or_b64 s[28:29], s[28:29], s[38:39]
	s_andn2_b64 exec, exec, s[30:31]
	s_cbranch_execz .LBB4_150
.LBB4_148:                              ;   Parent Loop BB4_122 Depth=1
                                        ; =>  This Inner Loop Header: Depth=2
	global_load_dword v88, v[72:73], off
	v_mov_b64_e32 v[74:75], v[70:71]
	s_or_b64 s[34:35], s[34:35], exec
	s_or_b64 s[36:37], s[36:37], exec
                                        ; implicit-def: $vgpr70_vgpr71
	s_waitcnt vmcnt(0)
	v_cmp_ne_u32_e32 vcc, v88, v85
	s_and_saveexec_b64 s[38:39], vcc
	s_cbranch_execz .LBB4_147
; %bb.149:                              ;   in Loop: Header=BB4_148 Depth=2
	v_lshl_add_u64 v[70:71], v[74:75], 0, 1
	v_cmp_ge_i32_e32 vcc, v70, v87
	s_andn2_b64 s[36:37], s[36:37], exec
	s_and_b64 s[40:41], vcc, exec
	v_lshl_add_u64 v[72:73], v[72:73], 0, 4
	s_andn2_b64 s[34:35], s[34:35], exec
	s_or_b64 s[36:37], s[36:37], s[40:41]
	s_branch .LBB4_147
.LBB4_150:                              ;   in Loop: Header=BB4_122 Depth=1
	s_or_b64 exec, exec, s[30:31]
	s_and_saveexec_b64 s[30:31], s[28:29]
	s_xor_b64 s[28:29], exec, s[30:31]
	s_cbranch_execz .LBB4_152
; %bb.151:                              ;   in Loop: Header=BB4_122 Depth=1
	v_lshl_add_u64 v[70:71], v[74:75], 3, s[20:21]
	global_load_dwordx2 v[70:71], v[70:71], off
	v_add_u32_e32 v86, 1, v86
	s_waitcnt vmcnt(0)
	v_div_scale_f64 v[72:73], s[30:31], v[14:15], v[14:15], v[70:71]
	v_rcp_f64_e32 v[74:75], v[72:73]
	v_div_scale_f64 v[88:89], vcc, v[70:71], v[14:15], v[70:71]
	v_fma_f64 v[90:91], -v[72:73], v[74:75], 1.0
	v_fmac_f64_e32 v[74:75], v[74:75], v[90:91]
	v_fma_f64 v[90:91], -v[72:73], v[74:75], 1.0
	v_fmac_f64_e32 v[74:75], v[74:75], v[90:91]
	v_mul_f64 v[90:91], v[88:89], v[74:75]
	v_fma_f64 v[72:73], -v[72:73], v[90:91], v[88:89]
	v_div_fmas_f64 v[72:73], v[72:73], v[74:75], v[90:91]
	v_div_fixup_f64 v[70:71], v[72:73], v[14:15], v[70:71]
	v_add_f64 v[68:69], v[68:69], v[70:71]
.LBB4_152:                              ;   in Loop: Header=BB4_122 Depth=1
	s_or_b64 exec, exec, s[28:29]
.LBB4_153:                              ;   in Loop: Header=BB4_122 Depth=1
	s_or_b64 exec, exec, s[26:27]
	s_or_b64 exec, exec, s[22:23]
	s_and_saveexec_b64 s[22:23], s[6:7]
	s_xor_b64 s[22:23], exec, s[22:23]
	s_cbranch_execz .LBB4_127
.LBB4_154:                              ;   in Loop: Header=BB4_122 Depth=1
	s_waitcnt vmcnt(0)
	v_cmp_eq_u32_e32 vcc, v85, v80
	s_and_saveexec_b64 s[26:27], vcc
	s_cbranch_execz .LBB4_156
; %bb.155:                              ;   in Loop: Header=BB4_122 Depth=1
	global_load_dwordx2 v[70:71], v[26:27], off offset:8
	v_add_u32_e32 v86, 1, v86
	s_waitcnt vmcnt(0)
	v_div_scale_f64 v[72:73], s[28:29], v[12:13], v[12:13], v[70:71]
	v_rcp_f64_e32 v[74:75], v[72:73]
	v_div_scale_f64 v[88:89], vcc, v[70:71], v[12:13], v[70:71]
	v_fma_f64 v[90:91], -v[72:73], v[74:75], 1.0
	v_fmac_f64_e32 v[74:75], v[74:75], v[90:91]
	v_fma_f64 v[90:91], -v[72:73], v[74:75], 1.0
	v_fmac_f64_e32 v[74:75], v[74:75], v[90:91]
	v_mul_f64 v[90:91], v[88:89], v[74:75]
	v_fma_f64 v[72:73], -v[72:73], v[90:91], v[88:89]
	v_div_fmas_f64 v[72:73], v[72:73], v[74:75], v[90:91]
	v_div_fixup_f64 v[70:71], v[72:73], v[12:13], v[70:71]
	v_add_f64 v[68:69], v[68:69], v[70:71]
.LBB4_156:                              ;   in Loop: Header=BB4_122 Depth=1
	s_or_b64 exec, exec, s[26:27]
	s_andn2_saveexec_b64 s[22:23], s[22:23]
	s_cbranch_execz .LBB4_128
.LBB4_157:                              ;   in Loop: Header=BB4_122 Depth=1
	global_load_dword v70, v[56:57], off
	global_load_dword v87, v[46:47], off
	s_waitcnt vmcnt(0)
	v_cmp_lt_i32_e32 vcc, v70, v87
	s_and_saveexec_b64 s[26:27], vcc
	s_cbranch_execz .LBB4_165
; %bb.158:                              ;   in Loop: Header=BB4_122 Depth=1
	v_ashrrev_i32_e32 v71, 31, v70
	v_lshl_add_u64 v[72:73], v[70:71], 2, s[16:17]
	s_mov_b64 s[30:31], 0
                                        ; implicit-def: $sgpr28_sgpr29
                                        ; implicit-def: $sgpr36_sgpr37
                                        ; implicit-def: $sgpr34_sgpr35
	s_branch .LBB4_160
.LBB4_159:                              ;   in Loop: Header=BB4_160 Depth=2
	s_or_b64 exec, exec, s[38:39]
	s_and_b64 s[38:39], exec, s[36:37]
	s_or_b64 s[30:31], s[38:39], s[30:31]
	s_andn2_b64 s[28:29], s[28:29], exec
	s_and_b64 s[38:39], s[34:35], exec
	s_or_b64 s[28:29], s[28:29], s[38:39]
	s_andn2_b64 exec, exec, s[30:31]
	s_cbranch_execz .LBB4_162
.LBB4_160:                              ;   Parent Loop BB4_122 Depth=1
                                        ; =>  This Inner Loop Header: Depth=2
	global_load_dword v88, v[72:73], off
	v_mov_b64_e32 v[74:75], v[70:71]
	s_or_b64 s[34:35], s[34:35], exec
	s_or_b64 s[36:37], s[36:37], exec
                                        ; implicit-def: $vgpr70_vgpr71
	s_waitcnt vmcnt(0)
	v_cmp_ne_u32_e32 vcc, v88, v85
	s_and_saveexec_b64 s[38:39], vcc
	s_cbranch_execz .LBB4_159
; %bb.161:                              ;   in Loop: Header=BB4_160 Depth=2
	v_lshl_add_u64 v[70:71], v[74:75], 0, 1
	v_cmp_ge_i32_e32 vcc, v70, v87
	s_andn2_b64 s[36:37], s[36:37], exec
	s_and_b64 s[40:41], vcc, exec
	v_lshl_add_u64 v[72:73], v[72:73], 0, 4
	s_andn2_b64 s[34:35], s[34:35], exec
	s_or_b64 s[36:37], s[36:37], s[40:41]
	s_branch .LBB4_159
.LBB4_162:                              ;   in Loop: Header=BB4_122 Depth=1
	s_or_b64 exec, exec, s[30:31]
	s_and_saveexec_b64 s[30:31], s[28:29]
	s_xor_b64 s[28:29], exec, s[30:31]
	s_cbranch_execz .LBB4_164
; %bb.163:                              ;   in Loop: Header=BB4_122 Depth=1
	v_lshl_add_u64 v[70:71], v[74:75], 3, s[20:21]
	global_load_dwordx2 v[70:71], v[70:71], off
	v_add_u32_e32 v86, 1, v86
	s_waitcnt vmcnt(0)
	v_div_scale_f64 v[72:73], s[30:31], v[12:13], v[12:13], v[70:71]
	v_rcp_f64_e32 v[74:75], v[72:73]
	v_div_scale_f64 v[88:89], vcc, v[70:71], v[12:13], v[70:71]
	v_fma_f64 v[90:91], -v[72:73], v[74:75], 1.0
	v_fmac_f64_e32 v[74:75], v[74:75], v[90:91]
	v_fma_f64 v[90:91], -v[72:73], v[74:75], 1.0
	v_fmac_f64_e32 v[74:75], v[74:75], v[90:91]
	v_mul_f64 v[90:91], v[88:89], v[74:75]
	v_fma_f64 v[72:73], -v[72:73], v[90:91], v[88:89]
	v_div_fmas_f64 v[72:73], v[72:73], v[74:75], v[90:91]
	v_div_fixup_f64 v[70:71], v[72:73], v[12:13], v[70:71]
	v_add_f64 v[68:69], v[68:69], v[70:71]
.LBB4_164:                              ;   in Loop: Header=BB4_122 Depth=1
	s_or_b64 exec, exec, s[28:29]
.LBB4_165:                              ;   in Loop: Header=BB4_122 Depth=1
	s_or_b64 exec, exec, s[26:27]
	s_or_b64 exec, exec, s[22:23]
	s_and_saveexec_b64 s[22:23], s[8:9]
	s_xor_b64 s[22:23], exec, s[22:23]
	s_cbranch_execz .LBB4_129
.LBB4_166:                              ;   in Loop: Header=BB4_122 Depth=1
	s_waitcnt vmcnt(0)
	v_cmp_eq_u32_e32 vcc, v85, v81
	s_and_saveexec_b64 s[26:27], vcc
	s_cbranch_execz .LBB4_168
; %bb.167:                              ;   in Loop: Header=BB4_122 Depth=1
	global_load_dwordx2 v[70:71], v[28:29], off
	v_add_u32_e32 v86, 1, v86
	s_waitcnt vmcnt(0)
	v_div_scale_f64 v[72:73], s[28:29], v[10:11], v[10:11], v[70:71]
	v_rcp_f64_e32 v[74:75], v[72:73]
	v_div_scale_f64 v[88:89], vcc, v[70:71], v[10:11], v[70:71]
	v_fma_f64 v[90:91], -v[72:73], v[74:75], 1.0
	v_fmac_f64_e32 v[74:75], v[74:75], v[90:91]
	v_fma_f64 v[90:91], -v[72:73], v[74:75], 1.0
	v_fmac_f64_e32 v[74:75], v[74:75], v[90:91]
	v_mul_f64 v[90:91], v[88:89], v[74:75]
	v_fma_f64 v[72:73], -v[72:73], v[90:91], v[88:89]
	v_div_fmas_f64 v[72:73], v[72:73], v[74:75], v[90:91]
	v_div_fixup_f64 v[70:71], v[72:73], v[10:11], v[70:71]
	v_add_f64 v[68:69], v[68:69], v[70:71]
.LBB4_168:                              ;   in Loop: Header=BB4_122 Depth=1
	s_or_b64 exec, exec, s[26:27]
	s_andn2_saveexec_b64 s[22:23], s[22:23]
	s_cbranch_execz .LBB4_178
.LBB4_169:                              ;   in Loop: Header=BB4_122 Depth=1
	global_load_dword v70, v[58:59], off
	global_load_dword v87, v[48:49], off
	s_waitcnt vmcnt(0)
	v_cmp_lt_i32_e32 vcc, v70, v87
	s_and_saveexec_b64 s[26:27], vcc
	s_cbranch_execz .LBB4_177
; %bb.170:                              ;   in Loop: Header=BB4_122 Depth=1
	v_ashrrev_i32_e32 v71, 31, v70
	v_lshl_add_u64 v[72:73], v[70:71], 2, s[16:17]
	s_mov_b64 s[30:31], 0
                                        ; implicit-def: $sgpr28_sgpr29
                                        ; implicit-def: $sgpr36_sgpr37
                                        ; implicit-def: $sgpr34_sgpr35
	s_branch .LBB4_172
.LBB4_171:                              ;   in Loop: Header=BB4_172 Depth=2
	s_or_b64 exec, exec, s[38:39]
	s_and_b64 s[38:39], exec, s[36:37]
	s_or_b64 s[30:31], s[38:39], s[30:31]
	s_andn2_b64 s[28:29], s[28:29], exec
	s_and_b64 s[38:39], s[34:35], exec
	s_or_b64 s[28:29], s[28:29], s[38:39]
	s_andn2_b64 exec, exec, s[30:31]
	s_cbranch_execz .LBB4_174
.LBB4_172:                              ;   Parent Loop BB4_122 Depth=1
                                        ; =>  This Inner Loop Header: Depth=2
	global_load_dword v88, v[72:73], off
	v_mov_b64_e32 v[74:75], v[70:71]
	s_or_b64 s[34:35], s[34:35], exec
	s_or_b64 s[36:37], s[36:37], exec
                                        ; implicit-def: $vgpr70_vgpr71
	s_waitcnt vmcnt(0)
	v_cmp_ne_u32_e32 vcc, v88, v85
	s_and_saveexec_b64 s[38:39], vcc
	s_cbranch_execz .LBB4_171
; %bb.173:                              ;   in Loop: Header=BB4_172 Depth=2
	v_lshl_add_u64 v[70:71], v[74:75], 0, 1
	v_cmp_ge_i32_e32 vcc, v70, v87
	s_andn2_b64 s[36:37], s[36:37], exec
	s_and_b64 s[40:41], vcc, exec
	v_lshl_add_u64 v[72:73], v[72:73], 0, 4
	s_andn2_b64 s[34:35], s[34:35], exec
	s_or_b64 s[36:37], s[36:37], s[40:41]
	s_branch .LBB4_171
.LBB4_174:                              ;   in Loop: Header=BB4_122 Depth=1
	s_or_b64 exec, exec, s[30:31]
	s_and_saveexec_b64 s[30:31], s[28:29]
	s_xor_b64 s[28:29], exec, s[30:31]
	s_cbranch_execz .LBB4_176
; %bb.175:                              ;   in Loop: Header=BB4_122 Depth=1
	v_lshl_add_u64 v[70:71], v[74:75], 3, s[20:21]
	global_load_dwordx2 v[70:71], v[70:71], off
	v_add_u32_e32 v86, 1, v86
	s_waitcnt vmcnt(0)
	v_div_scale_f64 v[72:73], s[30:31], v[10:11], v[10:11], v[70:71]
	v_rcp_f64_e32 v[74:75], v[72:73]
	v_div_scale_f64 v[88:89], vcc, v[70:71], v[10:11], v[70:71]
	v_fma_f64 v[90:91], -v[72:73], v[74:75], 1.0
	v_fmac_f64_e32 v[74:75], v[74:75], v[90:91]
	v_fma_f64 v[90:91], -v[72:73], v[74:75], 1.0
	v_fmac_f64_e32 v[74:75], v[74:75], v[90:91]
	v_mul_f64 v[90:91], v[88:89], v[74:75]
	v_fma_f64 v[72:73], -v[72:73], v[90:91], v[88:89]
	v_div_fmas_f64 v[72:73], v[72:73], v[74:75], v[90:91]
	v_div_fixup_f64 v[70:71], v[72:73], v[10:11], v[70:71]
	v_add_f64 v[68:69], v[68:69], v[70:71]
.LBB4_176:                              ;   in Loop: Header=BB4_122 Depth=1
	s_or_b64 exec, exec, s[28:29]
.LBB4_177:                              ;   in Loop: Header=BB4_122 Depth=1
	s_or_b64 exec, exec, s[26:27]
.LBB4_178:                              ;   in Loop: Header=BB4_122 Depth=1
	s_or_b64 exec, exec, s[22:23]
	s_mov_b64 s[26:27], 0
	v_mov_b64_e32 v[72:73], v[34:35]
	v_mov_b64_e32 v[74:75], v[32:33]
                                        ; implicit-def: $sgpr22_sgpr23
                                        ; implicit-def: $sgpr30_sgpr31
                                        ; implicit-def: $sgpr28_sgpr29
	s_branch .LBB4_180
.LBB4_179:                              ;   in Loop: Header=BB4_180 Depth=2
	s_or_b64 exec, exec, s[34:35]
	s_and_b64 s[34:35], exec, s[30:31]
	s_or_b64 s[26:27], s[34:35], s[26:27]
	s_andn2_b64 s[22:23], s[22:23], exec
	s_and_b64 s[34:35], s[28:29], exec
	s_or_b64 s[22:23], s[22:23], s[34:35]
	s_andn2_b64 exec, exec, s[26:27]
	s_cbranch_execz .LBB4_182
.LBB4_180:                              ;   Parent Loop BB4_122 Depth=1
                                        ; =>  This Inner Loop Header: Depth=2
	global_load_dword v87, v[72:73], off
	v_mov_b64_e32 v[70:71], v[74:75]
	s_or_b64 s[28:29], s[28:29], exec
	s_or_b64 s[30:31], s[30:31], exec
                                        ; implicit-def: $vgpr74_vgpr75
	s_waitcnt vmcnt(0)
	v_cmp_ne_u32_e32 vcc, v87, v85
	s_and_saveexec_b64 s[34:35], vcc
	s_cbranch_execz .LBB4_179
; %bb.181:                              ;   in Loop: Header=BB4_180 Depth=2
	v_lshl_add_u64 v[74:75], v[70:71], 0, 1
	v_cmp_ge_i32_e32 vcc, v74, v76
	s_andn2_b64 s[30:31], s[30:31], exec
	s_and_b64 s[36:37], vcc, exec
	v_lshl_add_u64 v[72:73], v[72:73], 0, 4
	s_andn2_b64 s[28:29], s[28:29], exec
	s_or_b64 s[30:31], s[30:31], s[36:37]
	s_branch .LBB4_179
.LBB4_182:                              ;   in Loop: Header=BB4_122 Depth=1
	s_or_b64 exec, exec, s[26:27]
	s_and_saveexec_b64 s[26:27], s[22:23]
	s_xor_b64 s[22:23], exec, s[26:27]
	s_cbranch_execnz .LBB4_191
; %bb.183:                              ;   in Loop: Header=BB4_122 Depth=1
	s_or_b64 exec, exec, s[22:23]
	s_and_saveexec_b64 s[22:23], s[0:1]
	s_xor_b64 s[22:23], exec, s[22:23]
	s_cbranch_execnz .LBB4_192
.LBB4_184:                              ;   in Loop: Header=BB4_122 Depth=1
	s_andn2_saveexec_b64 s[22:23], s[22:23]
	s_cbranch_execnz .LBB4_195
.LBB4_185:                              ;   in Loop: Header=BB4_122 Depth=1
	s_or_b64 exec, exec, s[22:23]
	s_and_saveexec_b64 s[22:23], s[10:11]
	s_xor_b64 s[22:23], exec, s[22:23]
	s_cbranch_execnz .LBB4_204
.LBB4_186:                              ;   in Loop: Header=BB4_122 Depth=1
	s_andn2_saveexec_b64 s[22:23], s[22:23]
	s_cbranch_execnz .LBB4_207
.LBB4_187:                              ;   in Loop: Header=BB4_122 Depth=1
	s_or_b64 exec, exec, s[22:23]
	s_and_saveexec_b64 s[22:23], s[12:13]
	s_xor_b64 s[22:23], exec, s[22:23]
	s_cbranch_execnz .LBB4_216
.LBB4_188:                              ;   in Loop: Header=BB4_122 Depth=1
	s_andn2_saveexec_b64 s[22:23], s[22:23]
	s_cbranch_execnz .LBB4_219
.LBB4_189:                              ;   in Loop: Header=BB4_122 Depth=1
	s_or_b64 exec, exec, s[22:23]
	s_and_saveexec_b64 s[22:23], s[14:15]
	s_xor_b64 s[22:23], exec, s[22:23]
	s_cbranch_execnz .LBB4_228
.LBB4_190:                              ;   in Loop: Header=BB4_122 Depth=1
	s_andn2_saveexec_b64 s[22:23], s[22:23]
	s_cbranch_execz .LBB4_121
	s_branch .LBB4_231
.LBB4_191:                              ;   in Loop: Header=BB4_122 Depth=1
	v_lshl_add_u64 v[70:71], v[70:71], 3, s[20:21]
	global_load_dwordx2 v[70:71], v[70:71], off
	v_add_u32_e32 v86, 1, v86
	s_waitcnt vmcnt(0)
	v_div_scale_f64 v[72:73], s[26:27], v[8:9], v[8:9], v[70:71]
	v_rcp_f64_e32 v[74:75], v[72:73]
	v_div_scale_f64 v[88:89], vcc, v[70:71], v[8:9], v[70:71]
	v_fma_f64 v[90:91], -v[72:73], v[74:75], 1.0
	v_fmac_f64_e32 v[74:75], v[74:75], v[90:91]
	v_fma_f64 v[90:91], -v[72:73], v[74:75], 1.0
	v_fmac_f64_e32 v[74:75], v[74:75], v[90:91]
	v_mul_f64 v[90:91], v[88:89], v[74:75]
	v_fma_f64 v[72:73], -v[72:73], v[90:91], v[88:89]
	v_div_fmas_f64 v[72:73], v[72:73], v[74:75], v[90:91]
	v_div_fixup_f64 v[70:71], v[72:73], v[8:9], v[70:71]
	v_add_f64 v[68:69], v[68:69], v[70:71]
	s_or_b64 exec, exec, s[22:23]
	s_and_saveexec_b64 s[22:23], s[0:1]
	s_xor_b64 s[22:23], exec, s[22:23]
	s_cbranch_execz .LBB4_184
.LBB4_192:                              ;   in Loop: Header=BB4_122 Depth=1
	v_cmp_eq_u32_e32 vcc, v85, v77
	s_and_saveexec_b64 s[26:27], vcc
	s_cbranch_execz .LBB4_194
; %bb.193:                              ;   in Loop: Header=BB4_122 Depth=1
	global_load_dwordx2 v[70:71], v[16:17], off offset:8
	v_add_u32_e32 v86, 1, v86
	s_waitcnt vmcnt(0)
	v_div_scale_f64 v[72:73], s[28:29], v[6:7], v[6:7], v[70:71]
	v_rcp_f64_e32 v[74:75], v[72:73]
	v_div_scale_f64 v[88:89], vcc, v[70:71], v[6:7], v[70:71]
	v_fma_f64 v[90:91], -v[72:73], v[74:75], 1.0
	v_fmac_f64_e32 v[74:75], v[74:75], v[90:91]
	v_fma_f64 v[90:91], -v[72:73], v[74:75], 1.0
	v_fmac_f64_e32 v[74:75], v[74:75], v[90:91]
	v_mul_f64 v[90:91], v[88:89], v[74:75]
	v_fma_f64 v[72:73], -v[72:73], v[90:91], v[88:89]
	v_div_fmas_f64 v[72:73], v[72:73], v[74:75], v[90:91]
	v_div_fixup_f64 v[70:71], v[72:73], v[6:7], v[70:71]
	v_add_f64 v[68:69], v[68:69], v[70:71]
.LBB4_194:                              ;   in Loop: Header=BB4_122 Depth=1
	s_or_b64 exec, exec, s[26:27]
	s_andn2_saveexec_b64 s[22:23], s[22:23]
	s_cbranch_execz .LBB4_185
.LBB4_195:                              ;   in Loop: Header=BB4_122 Depth=1
	global_load_dword v70, v[60:61], off
	global_load_dword v87, v[38:39], off
	s_waitcnt vmcnt(0)
	v_cmp_lt_i32_e32 vcc, v70, v87
	s_and_saveexec_b64 s[26:27], vcc
	s_cbranch_execz .LBB4_203
; %bb.196:                              ;   in Loop: Header=BB4_122 Depth=1
	v_ashrrev_i32_e32 v71, 31, v70
	v_lshl_add_u64 v[72:73], v[70:71], 2, s[16:17]
	s_mov_b64 s[30:31], 0
                                        ; implicit-def: $sgpr28_sgpr29
                                        ; implicit-def: $sgpr36_sgpr37
                                        ; implicit-def: $sgpr34_sgpr35
	s_branch .LBB4_198
.LBB4_197:                              ;   in Loop: Header=BB4_198 Depth=2
	s_or_b64 exec, exec, s[38:39]
	s_and_b64 s[38:39], exec, s[36:37]
	s_or_b64 s[30:31], s[38:39], s[30:31]
	s_andn2_b64 s[28:29], s[28:29], exec
	s_and_b64 s[38:39], s[34:35], exec
	s_or_b64 s[28:29], s[28:29], s[38:39]
	s_andn2_b64 exec, exec, s[30:31]
	s_cbranch_execz .LBB4_200
.LBB4_198:                              ;   Parent Loop BB4_122 Depth=1
                                        ; =>  This Inner Loop Header: Depth=2
	global_load_dword v88, v[72:73], off
	v_mov_b64_e32 v[74:75], v[70:71]
	s_or_b64 s[34:35], s[34:35], exec
	s_or_b64 s[36:37], s[36:37], exec
                                        ; implicit-def: $vgpr70_vgpr71
	s_waitcnt vmcnt(0)
	v_cmp_ne_u32_e32 vcc, v88, v85
	s_and_saveexec_b64 s[38:39], vcc
	s_cbranch_execz .LBB4_197
; %bb.199:                              ;   in Loop: Header=BB4_198 Depth=2
	v_lshl_add_u64 v[70:71], v[74:75], 0, 1
	v_cmp_ge_i32_e32 vcc, v70, v87
	s_andn2_b64 s[36:37], s[36:37], exec
	s_and_b64 s[40:41], vcc, exec
	v_lshl_add_u64 v[72:73], v[72:73], 0, 4
	s_andn2_b64 s[34:35], s[34:35], exec
	s_or_b64 s[36:37], s[36:37], s[40:41]
	s_branch .LBB4_197
.LBB4_200:                              ;   in Loop: Header=BB4_122 Depth=1
	s_or_b64 exec, exec, s[30:31]
	s_and_saveexec_b64 s[30:31], s[28:29]
	s_xor_b64 s[28:29], exec, s[30:31]
	s_cbranch_execz .LBB4_202
; %bb.201:                              ;   in Loop: Header=BB4_122 Depth=1
	v_lshl_add_u64 v[70:71], v[74:75], 3, s[20:21]
	global_load_dwordx2 v[70:71], v[70:71], off
	v_add_u32_e32 v86, 1, v86
	s_waitcnt vmcnt(0)
	v_div_scale_f64 v[72:73], s[30:31], v[6:7], v[6:7], v[70:71]
	v_rcp_f64_e32 v[74:75], v[72:73]
	v_div_scale_f64 v[88:89], vcc, v[70:71], v[6:7], v[70:71]
	v_fma_f64 v[90:91], -v[72:73], v[74:75], 1.0
	v_fmac_f64_e32 v[74:75], v[74:75], v[90:91]
	v_fma_f64 v[90:91], -v[72:73], v[74:75], 1.0
	v_fmac_f64_e32 v[74:75], v[74:75], v[90:91]
	v_mul_f64 v[90:91], v[88:89], v[74:75]
	v_fma_f64 v[72:73], -v[72:73], v[90:91], v[88:89]
	v_div_fmas_f64 v[72:73], v[72:73], v[74:75], v[90:91]
	v_div_fixup_f64 v[70:71], v[72:73], v[6:7], v[70:71]
	v_add_f64 v[68:69], v[68:69], v[70:71]
.LBB4_202:                              ;   in Loop: Header=BB4_122 Depth=1
	s_or_b64 exec, exec, s[28:29]
.LBB4_203:                              ;   in Loop: Header=BB4_122 Depth=1
	s_or_b64 exec, exec, s[26:27]
	s_or_b64 exec, exec, s[22:23]
	s_and_saveexec_b64 s[22:23], s[10:11]
	s_xor_b64 s[22:23], exec, s[22:23]
	s_cbranch_execz .LBB4_186
.LBB4_204:                              ;   in Loop: Header=BB4_122 Depth=1
	v_cmp_eq_u32_e32 vcc, v85, v82
	s_and_saveexec_b64 s[26:27], vcc
	s_cbranch_execz .LBB4_206
; %bb.205:                              ;   in Loop: Header=BB4_122 Depth=1
	global_load_dwordx2 v[70:71], v[30:31], off
	v_add_u32_e32 v86, 1, v86
	s_waitcnt vmcnt(0)
	v_div_scale_f64 v[72:73], s[28:29], v[4:5], v[4:5], v[70:71]
	v_rcp_f64_e32 v[74:75], v[72:73]
	v_div_scale_f64 v[88:89], vcc, v[70:71], v[4:5], v[70:71]
	v_fma_f64 v[90:91], -v[72:73], v[74:75], 1.0
	v_fmac_f64_e32 v[74:75], v[74:75], v[90:91]
	v_fma_f64 v[90:91], -v[72:73], v[74:75], 1.0
	v_fmac_f64_e32 v[74:75], v[74:75], v[90:91]
	v_mul_f64 v[90:91], v[88:89], v[74:75]
	v_fma_f64 v[72:73], -v[72:73], v[90:91], v[88:89]
	v_div_fmas_f64 v[72:73], v[72:73], v[74:75], v[90:91]
	v_div_fixup_f64 v[70:71], v[72:73], v[4:5], v[70:71]
	v_add_f64 v[68:69], v[68:69], v[70:71]
.LBB4_206:                              ;   in Loop: Header=BB4_122 Depth=1
	s_or_b64 exec, exec, s[26:27]
	s_andn2_saveexec_b64 s[22:23], s[22:23]
	s_cbranch_execz .LBB4_187
.LBB4_207:                              ;   in Loop: Header=BB4_122 Depth=1
	global_load_dword v70, v[62:63], off
	global_load_dword v87, v[50:51], off
	s_waitcnt vmcnt(0)
	v_cmp_lt_i32_e32 vcc, v70, v87
	s_and_saveexec_b64 s[26:27], vcc
	s_cbranch_execz .LBB4_215
; %bb.208:                              ;   in Loop: Header=BB4_122 Depth=1
	v_ashrrev_i32_e32 v71, 31, v70
	v_lshl_add_u64 v[72:73], v[70:71], 2, s[16:17]
	s_mov_b64 s[30:31], 0
                                        ; implicit-def: $sgpr28_sgpr29
                                        ; implicit-def: $sgpr36_sgpr37
                                        ; implicit-def: $sgpr34_sgpr35
	s_branch .LBB4_210
.LBB4_209:                              ;   in Loop: Header=BB4_210 Depth=2
	s_or_b64 exec, exec, s[38:39]
	s_and_b64 s[38:39], exec, s[36:37]
	s_or_b64 s[30:31], s[38:39], s[30:31]
	s_andn2_b64 s[28:29], s[28:29], exec
	s_and_b64 s[38:39], s[34:35], exec
	s_or_b64 s[28:29], s[28:29], s[38:39]
	s_andn2_b64 exec, exec, s[30:31]
	s_cbranch_execz .LBB4_212
.LBB4_210:                              ;   Parent Loop BB4_122 Depth=1
                                        ; =>  This Inner Loop Header: Depth=2
	global_load_dword v88, v[72:73], off
	v_mov_b64_e32 v[74:75], v[70:71]
	s_or_b64 s[34:35], s[34:35], exec
	s_or_b64 s[36:37], s[36:37], exec
                                        ; implicit-def: $vgpr70_vgpr71
	s_waitcnt vmcnt(0)
	v_cmp_ne_u32_e32 vcc, v88, v85
	s_and_saveexec_b64 s[38:39], vcc
	s_cbranch_execz .LBB4_209
; %bb.211:                              ;   in Loop: Header=BB4_210 Depth=2
	v_lshl_add_u64 v[70:71], v[74:75], 0, 1
	v_cmp_ge_i32_e32 vcc, v70, v87
	s_andn2_b64 s[36:37], s[36:37], exec
	s_and_b64 s[40:41], vcc, exec
	v_lshl_add_u64 v[72:73], v[72:73], 0, 4
	s_andn2_b64 s[34:35], s[34:35], exec
	s_or_b64 s[36:37], s[36:37], s[40:41]
	s_branch .LBB4_209
.LBB4_212:                              ;   in Loop: Header=BB4_122 Depth=1
	s_or_b64 exec, exec, s[30:31]
	s_and_saveexec_b64 s[30:31], s[28:29]
	s_xor_b64 s[28:29], exec, s[30:31]
	s_cbranch_execz .LBB4_214
; %bb.213:                              ;   in Loop: Header=BB4_122 Depth=1
	v_lshl_add_u64 v[70:71], v[74:75], 3, s[20:21]
	global_load_dwordx2 v[70:71], v[70:71], off
	v_add_u32_e32 v86, 1, v86
	s_waitcnt vmcnt(0)
	v_div_scale_f64 v[72:73], s[30:31], v[4:5], v[4:5], v[70:71]
	v_rcp_f64_e32 v[74:75], v[72:73]
	v_div_scale_f64 v[88:89], vcc, v[70:71], v[4:5], v[70:71]
	v_fma_f64 v[90:91], -v[72:73], v[74:75], 1.0
	v_fmac_f64_e32 v[74:75], v[74:75], v[90:91]
	v_fma_f64 v[90:91], -v[72:73], v[74:75], 1.0
	v_fmac_f64_e32 v[74:75], v[74:75], v[90:91]
	v_mul_f64 v[90:91], v[88:89], v[74:75]
	v_fma_f64 v[72:73], -v[72:73], v[90:91], v[88:89]
	v_div_fmas_f64 v[72:73], v[72:73], v[74:75], v[90:91]
	v_div_fixup_f64 v[70:71], v[72:73], v[4:5], v[70:71]
	v_add_f64 v[68:69], v[68:69], v[70:71]
.LBB4_214:                              ;   in Loop: Header=BB4_122 Depth=1
	s_or_b64 exec, exec, s[28:29]
.LBB4_215:                              ;   in Loop: Header=BB4_122 Depth=1
	s_or_b64 exec, exec, s[26:27]
	s_or_b64 exec, exec, s[22:23]
	s_and_saveexec_b64 s[22:23], s[12:13]
	s_xor_b64 s[22:23], exec, s[22:23]
	s_cbranch_execz .LBB4_188
.LBB4_216:                              ;   in Loop: Header=BB4_122 Depth=1
	v_cmp_eq_u32_e32 vcc, v85, v83
	s_and_saveexec_b64 s[26:27], vcc
	s_cbranch_execz .LBB4_218
; %bb.217:                              ;   in Loop: Header=BB4_122 Depth=1
	global_load_dwordx2 v[70:71], v[22:23], off
	v_add_u32_e32 v86, 1, v86
	s_waitcnt vmcnt(0)
	v_div_scale_f64 v[72:73], s[28:29], v[2:3], v[2:3], v[70:71]
	v_rcp_f64_e32 v[74:75], v[72:73]
	v_div_scale_f64 v[88:89], vcc, v[70:71], v[2:3], v[70:71]
	v_fma_f64 v[90:91], -v[72:73], v[74:75], 1.0
	v_fmac_f64_e32 v[74:75], v[74:75], v[90:91]
	v_fma_f64 v[90:91], -v[72:73], v[74:75], 1.0
	v_fmac_f64_e32 v[74:75], v[74:75], v[90:91]
	v_mul_f64 v[90:91], v[88:89], v[74:75]
	v_fma_f64 v[72:73], -v[72:73], v[90:91], v[88:89]
	v_div_fmas_f64 v[72:73], v[72:73], v[74:75], v[90:91]
	v_div_fixup_f64 v[70:71], v[72:73], v[2:3], v[70:71]
	v_add_f64 v[68:69], v[68:69], v[70:71]
.LBB4_218:                              ;   in Loop: Header=BB4_122 Depth=1
	s_or_b64 exec, exec, s[26:27]
	s_andn2_saveexec_b64 s[22:23], s[22:23]
	s_cbranch_execz .LBB4_189
.LBB4_219:                              ;   in Loop: Header=BB4_122 Depth=1
	global_load_dword v70, v[64:65], off
	global_load_dword v87, v[52:53], off
	s_waitcnt vmcnt(0)
	v_cmp_lt_i32_e32 vcc, v70, v87
	s_and_saveexec_b64 s[26:27], vcc
	s_cbranch_execz .LBB4_227
; %bb.220:                              ;   in Loop: Header=BB4_122 Depth=1
	v_ashrrev_i32_e32 v71, 31, v70
	v_lshl_add_u64 v[72:73], v[70:71], 2, s[16:17]
	s_mov_b64 s[30:31], 0
                                        ; implicit-def: $sgpr28_sgpr29
                                        ; implicit-def: $sgpr36_sgpr37
                                        ; implicit-def: $sgpr34_sgpr35
	s_branch .LBB4_222
.LBB4_221:                              ;   in Loop: Header=BB4_222 Depth=2
	s_or_b64 exec, exec, s[38:39]
	s_and_b64 s[38:39], exec, s[36:37]
	s_or_b64 s[30:31], s[38:39], s[30:31]
	s_andn2_b64 s[28:29], s[28:29], exec
	s_and_b64 s[38:39], s[34:35], exec
	s_or_b64 s[28:29], s[28:29], s[38:39]
	s_andn2_b64 exec, exec, s[30:31]
	s_cbranch_execz .LBB4_224
.LBB4_222:                              ;   Parent Loop BB4_122 Depth=1
                                        ; =>  This Inner Loop Header: Depth=2
	global_load_dword v88, v[72:73], off
	v_mov_b64_e32 v[74:75], v[70:71]
	s_or_b64 s[34:35], s[34:35], exec
	s_or_b64 s[36:37], s[36:37], exec
                                        ; implicit-def: $vgpr70_vgpr71
	s_waitcnt vmcnt(0)
	v_cmp_ne_u32_e32 vcc, v88, v85
	s_and_saveexec_b64 s[38:39], vcc
	s_cbranch_execz .LBB4_221
; %bb.223:                              ;   in Loop: Header=BB4_222 Depth=2
	v_lshl_add_u64 v[70:71], v[74:75], 0, 1
	v_cmp_ge_i32_e32 vcc, v70, v87
	s_andn2_b64 s[36:37], s[36:37], exec
	s_and_b64 s[40:41], vcc, exec
	v_lshl_add_u64 v[72:73], v[72:73], 0, 4
	s_andn2_b64 s[34:35], s[34:35], exec
	s_or_b64 s[36:37], s[36:37], s[40:41]
	s_branch .LBB4_221
.LBB4_224:                              ;   in Loop: Header=BB4_122 Depth=1
	s_or_b64 exec, exec, s[30:31]
	s_and_saveexec_b64 s[30:31], s[28:29]
	s_xor_b64 s[28:29], exec, s[30:31]
	s_cbranch_execz .LBB4_226
; %bb.225:                              ;   in Loop: Header=BB4_122 Depth=1
	v_lshl_add_u64 v[70:71], v[74:75], 3, s[20:21]
	global_load_dwordx2 v[70:71], v[70:71], off
	v_add_u32_e32 v86, 1, v86
	s_waitcnt vmcnt(0)
	v_div_scale_f64 v[72:73], s[30:31], v[2:3], v[2:3], v[70:71]
	v_rcp_f64_e32 v[74:75], v[72:73]
	v_div_scale_f64 v[88:89], vcc, v[70:71], v[2:3], v[70:71]
	v_fma_f64 v[90:91], -v[72:73], v[74:75], 1.0
	v_fmac_f64_e32 v[74:75], v[74:75], v[90:91]
	v_fma_f64 v[90:91], -v[72:73], v[74:75], 1.0
	v_fmac_f64_e32 v[74:75], v[74:75], v[90:91]
	v_mul_f64 v[90:91], v[88:89], v[74:75]
	v_fma_f64 v[72:73], -v[72:73], v[90:91], v[88:89]
	v_div_fmas_f64 v[72:73], v[72:73], v[74:75], v[90:91]
	v_div_fixup_f64 v[70:71], v[72:73], v[2:3], v[70:71]
	v_add_f64 v[68:69], v[68:69], v[70:71]
.LBB4_226:                              ;   in Loop: Header=BB4_122 Depth=1
	s_or_b64 exec, exec, s[28:29]
.LBB4_227:                              ;   in Loop: Header=BB4_122 Depth=1
	s_or_b64 exec, exec, s[26:27]
	s_or_b64 exec, exec, s[22:23]
	s_and_saveexec_b64 s[22:23], s[14:15]
	s_xor_b64 s[22:23], exec, s[22:23]
	s_cbranch_execz .LBB4_190
.LBB4_228:                              ;   in Loop: Header=BB4_122 Depth=1
	v_cmp_eq_u32_e32 vcc, v85, v84
	s_and_saveexec_b64 s[26:27], vcc
	s_cbranch_execz .LBB4_230
; %bb.229:                              ;   in Loop: Header=BB4_122 Depth=1
	global_load_dwordx2 v[70:71], v[22:23], off offset:8
	v_add_u32_e32 v86, 1, v86
	s_waitcnt vmcnt(0)
	v_div_scale_f64 v[72:73], s[28:29], v[0:1], v[0:1], v[70:71]
	v_rcp_f64_e32 v[74:75], v[72:73]
	v_div_scale_f64 v[88:89], vcc, v[70:71], v[0:1], v[70:71]
	v_fma_f64 v[90:91], -v[72:73], v[74:75], 1.0
	v_fmac_f64_e32 v[74:75], v[74:75], v[90:91]
	v_fma_f64 v[90:91], -v[72:73], v[74:75], 1.0
	v_fmac_f64_e32 v[74:75], v[74:75], v[90:91]
	v_mul_f64 v[90:91], v[88:89], v[74:75]
	v_fma_f64 v[72:73], -v[72:73], v[90:91], v[88:89]
	v_div_fmas_f64 v[72:73], v[72:73], v[74:75], v[90:91]
	v_div_fixup_f64 v[70:71], v[72:73], v[0:1], v[70:71]
	v_add_f64 v[68:69], v[68:69], v[70:71]
.LBB4_230:                              ;   in Loop: Header=BB4_122 Depth=1
	s_or_b64 exec, exec, s[26:27]
                                        ; implicit-def: $vgpr85
	s_andn2_saveexec_b64 s[22:23], s[22:23]
	s_cbranch_execz .LBB4_121
.LBB4_231:                              ;   in Loop: Header=BB4_122 Depth=1
	global_load_dword v70, v[66:67], off
	global_load_dword v87, v[54:55], off
	s_waitcnt vmcnt(0)
	v_cmp_lt_i32_e32 vcc, v70, v87
	s_and_saveexec_b64 s[26:27], vcc
	s_cbranch_execz .LBB4_120
; %bb.232:                              ;   in Loop: Header=BB4_122 Depth=1
	v_ashrrev_i32_e32 v71, 31, v70
	v_lshl_add_u64 v[72:73], v[70:71], 2, s[16:17]
	s_mov_b64 s[30:31], 0
                                        ; implicit-def: $sgpr28_sgpr29
                                        ; implicit-def: $sgpr36_sgpr37
                                        ; implicit-def: $sgpr34_sgpr35
	s_branch .LBB4_234
.LBB4_233:                              ;   in Loop: Header=BB4_234 Depth=2
	s_or_b64 exec, exec, s[38:39]
	s_and_b64 s[38:39], exec, s[36:37]
	s_or_b64 s[30:31], s[38:39], s[30:31]
	s_andn2_b64 s[28:29], s[28:29], exec
	s_and_b64 s[38:39], s[34:35], exec
	s_or_b64 s[28:29], s[28:29], s[38:39]
	s_andn2_b64 exec, exec, s[30:31]
	s_cbranch_execz .LBB4_236
.LBB4_234:                              ;   Parent Loop BB4_122 Depth=1
                                        ; =>  This Inner Loop Header: Depth=2
	global_load_dword v88, v[72:73], off
	v_mov_b64_e32 v[74:75], v[70:71]
	s_or_b64 s[34:35], s[34:35], exec
	s_or_b64 s[36:37], s[36:37], exec
                                        ; implicit-def: $vgpr70_vgpr71
	s_waitcnt vmcnt(0)
	v_cmp_ne_u32_e32 vcc, v88, v85
	s_and_saveexec_b64 s[38:39], vcc
	s_cbranch_execz .LBB4_233
; %bb.235:                              ;   in Loop: Header=BB4_234 Depth=2
	v_lshl_add_u64 v[70:71], v[74:75], 0, 1
	v_cmp_ge_i32_e32 vcc, v70, v87
	s_andn2_b64 s[36:37], s[36:37], exec
	s_and_b64 s[40:41], vcc, exec
	v_lshl_add_u64 v[72:73], v[72:73], 0, 4
	s_andn2_b64 s[34:35], s[34:35], exec
	s_or_b64 s[36:37], s[36:37], s[40:41]
	s_branch .LBB4_233
.LBB4_236:                              ;   in Loop: Header=BB4_122 Depth=1
	s_or_b64 exec, exec, s[30:31]
	s_and_saveexec_b64 s[30:31], s[28:29]
	s_xor_b64 s[28:29], exec, s[30:31]
	s_cbranch_execz .LBB4_119
; %bb.237:                              ;   in Loop: Header=BB4_122 Depth=1
	v_lshl_add_u64 v[70:71], v[74:75], 3, s[20:21]
	global_load_dwordx2 v[70:71], v[70:71], off
	v_add_u32_e32 v86, 1, v86
	s_waitcnt vmcnt(0)
	v_div_scale_f64 v[72:73], s[30:31], v[0:1], v[0:1], v[70:71]
	v_rcp_f64_e32 v[74:75], v[72:73]
	v_div_scale_f64 v[88:89], vcc, v[70:71], v[0:1], v[70:71]
	v_fma_f64 v[90:91], -v[72:73], v[74:75], 1.0
	v_fmac_f64_e32 v[74:75], v[74:75], v[90:91]
	v_fma_f64 v[90:91], -v[72:73], v[74:75], 1.0
	v_fmac_f64_e32 v[74:75], v[74:75], v[90:91]
	v_mul_f64 v[90:91], v[88:89], v[74:75]
	v_fma_f64 v[72:73], -v[72:73], v[90:91], v[88:89]
	v_div_fmas_f64 v[72:73], v[72:73], v[74:75], v[90:91]
	v_div_fixup_f64 v[70:71], v[72:73], v[0:1], v[70:71]
	v_add_f64 v[68:69], v[68:69], v[70:71]
	s_branch .LBB4_119
.LBB4_238:
	s_endpgm
	.section	.rodata,"a",@progbits
	.p2align	6, 0x0
	.amdhsa_kernel _Z9ccc_loop3PKiS0_S0_PKdS2_PdS3_S2_S2_iiPi
		.amdhsa_group_segment_fixed_size 0
		.amdhsa_private_segment_fixed_size 0
		.amdhsa_kernarg_size 344
		.amdhsa_user_sgpr_count 2
		.amdhsa_user_sgpr_dispatch_ptr 0
		.amdhsa_user_sgpr_queue_ptr 0
		.amdhsa_user_sgpr_kernarg_segment_ptr 1
		.amdhsa_user_sgpr_dispatch_id 0
		.amdhsa_user_sgpr_kernarg_preload_length 0
		.amdhsa_user_sgpr_kernarg_preload_offset 0
		.amdhsa_user_sgpr_private_segment_size 0
		.amdhsa_uses_dynamic_stack 0
		.amdhsa_enable_private_segment 0
		.amdhsa_system_sgpr_workgroup_id_x 1
		.amdhsa_system_sgpr_workgroup_id_y 1
		.amdhsa_system_sgpr_workgroup_id_z 0
		.amdhsa_system_sgpr_workgroup_info 0
		.amdhsa_system_vgpr_workitem_id 1
		.amdhsa_next_free_vgpr 92
		.amdhsa_next_free_sgpr 42
		.amdhsa_accum_offset 92
		.amdhsa_reserve_vcc 1
		.amdhsa_float_round_mode_32 0
		.amdhsa_float_round_mode_16_64 0
		.amdhsa_float_denorm_mode_32 3
		.amdhsa_float_denorm_mode_16_64 3
		.amdhsa_dx10_clamp 1
		.amdhsa_ieee_mode 1
		.amdhsa_fp16_overflow 0
		.amdhsa_tg_split 0
		.amdhsa_exception_fp_ieee_invalid_op 0
		.amdhsa_exception_fp_denorm_src 0
		.amdhsa_exception_fp_ieee_div_zero 0
		.amdhsa_exception_fp_ieee_overflow 0
		.amdhsa_exception_fp_ieee_underflow 0
		.amdhsa_exception_fp_ieee_inexact 0
		.amdhsa_exception_int_div_zero 0
	.end_amdhsa_kernel
	.text
.Lfunc_end4:
	.size	_Z9ccc_loop3PKiS0_S0_PKdS2_PdS3_S2_S2_iiPi, .Lfunc_end4-_Z9ccc_loop3PKiS0_S0_PKdS2_PdS3_S2_S2_iiPi
                                        ; -- End function
	.set _Z9ccc_loop3PKiS0_S0_PKdS2_PdS3_S2_S2_iiPi.num_vgpr, 92
	.set _Z9ccc_loop3PKiS0_S0_PKdS2_PdS3_S2_S2_iiPi.num_agpr, 0
	.set _Z9ccc_loop3PKiS0_S0_PKdS2_PdS3_S2_S2_iiPi.numbered_sgpr, 42
	.set _Z9ccc_loop3PKiS0_S0_PKdS2_PdS3_S2_S2_iiPi.num_named_barrier, 0
	.set _Z9ccc_loop3PKiS0_S0_PKdS2_PdS3_S2_S2_iiPi.private_seg_size, 0
	.set _Z9ccc_loop3PKiS0_S0_PKdS2_PdS3_S2_S2_iiPi.uses_vcc, 1
	.set _Z9ccc_loop3PKiS0_S0_PKdS2_PdS3_S2_S2_iiPi.uses_flat_scratch, 0
	.set _Z9ccc_loop3PKiS0_S0_PKdS2_PdS3_S2_S2_iiPi.has_dyn_sized_stack, 0
	.set _Z9ccc_loop3PKiS0_S0_PKdS2_PdS3_S2_S2_iiPi.has_recursion, 0
	.set _Z9ccc_loop3PKiS0_S0_PKdS2_PdS3_S2_S2_iiPi.has_indirect_call, 0
	.section	.AMDGPU.csdata,"",@progbits
; Kernel info:
; codeLenInByte = 9672
; TotalNumSgprs: 48
; NumVgprs: 92
; NumAgprs: 0
; TotalNumVgprs: 92
; ScratchSize: 0
; MemoryBound: 0
; FloatMode: 240
; IeeeMode: 1
; LDSByteSize: 0 bytes/workgroup (compile time only)
; SGPRBlocks: 5
; VGPRBlocks: 11
; NumSGPRsForWavesPerEU: 48
; NumVGPRsForWavesPerEU: 92
; AccumOffset: 92
; Occupancy: 5
; WaveLimiterHint : 1
; COMPUTE_PGM_RSRC2:SCRATCH_EN: 0
; COMPUTE_PGM_RSRC2:USER_SGPR: 2
; COMPUTE_PGM_RSRC2:TRAP_HANDLER: 0
; COMPUTE_PGM_RSRC2:TGID_X_EN: 1
; COMPUTE_PGM_RSRC2:TGID_Y_EN: 1
; COMPUTE_PGM_RSRC2:TGID_Z_EN: 0
; COMPUTE_PGM_RSRC2:TIDIG_COMP_CNT: 1
; COMPUTE_PGM_RSRC3_GFX90A:ACCUM_OFFSET: 22
; COMPUTE_PGM_RSRC3_GFX90A:TG_SPLIT: 0
	.text
	.p2alignl 6, 3212836864
	.fill 256, 4, 3212836864
	.section	.AMDGPU.gpr_maximums,"",@progbits
	.set amdgpu.max_num_vgpr, 0
	.set amdgpu.max_num_agpr, 0
	.set amdgpu.max_num_sgpr, 0
	.text
	.type	__hip_cuid_97ab38dac54bc2cc,@object ; @__hip_cuid_97ab38dac54bc2cc
	.section	.bss,"aw",@nobits
	.globl	__hip_cuid_97ab38dac54bc2cc
__hip_cuid_97ab38dac54bc2cc:
	.byte	0                               ; 0x0
	.size	__hip_cuid_97ab38dac54bc2cc, 1

	.ident	"AMD clang version 22.0.0git (https://github.com/RadeonOpenCompute/llvm-project roc-7.2.4 26084 f58b06dce1f9c15707c5f808fd002e18c2accf7e)"
	.section	".note.GNU-stack","",@progbits
	.addrsig
	.addrsig_sym __hip_cuid_97ab38dac54bc2cc
	.amdgpu_metadata
---
amdhsa.kernels:
  - .agpr_count:     0
    .args:
      - .actual_access:  read_only
        .address_space:  global
        .offset:         0
        .size:           8
        .value_kind:     global_buffer
      - .actual_access:  read_only
        .address_space:  global
        .offset:         8
        .size:           8
        .value_kind:     global_buffer
      - .actual_access:  read_only
        .address_space:  global
        .offset:         16
        .size:           8
        .value_kind:     global_buffer
      - .actual_access:  read_only
        .address_space:  global
        .offset:         24
        .size:           8
        .value_kind:     global_buffer
      - .actual_access:  read_only
        .address_space:  global
        .offset:         32
        .size:           8
        .value_kind:     global_buffer
      - .actual_access:  read_only
        .address_space:  global
        .offset:         40
        .size:           8
        .value_kind:     global_buffer
      - .actual_access:  write_only
        .address_space:  global
        .offset:         48
        .size:           8
        .value_kind:     global_buffer
      - .offset:         56
        .size:           4
        .value_kind:     by_value
      - .offset:         60
        .size:           4
        .value_kind:     by_value
      - .actual_access:  read_only
        .address_space:  global
        .offset:         64
        .size:           8
        .value_kind:     global_buffer
      - .offset:         72
        .size:           4
        .value_kind:     hidden_block_count_x
      - .offset:         76
        .size:           4
        .value_kind:     hidden_block_count_y
      - .offset:         80
        .size:           4
        .value_kind:     hidden_block_count_z
      - .offset:         84
        .size:           2
        .value_kind:     hidden_group_size_x
      - .offset:         86
        .size:           2
        .value_kind:     hidden_group_size_y
      - .offset:         88
        .size:           2
        .value_kind:     hidden_group_size_z
      - .offset:         90
        .size:           2
        .value_kind:     hidden_remainder_x
      - .offset:         92
        .size:           2
        .value_kind:     hidden_remainder_y
      - .offset:         94
        .size:           2
        .value_kind:     hidden_remainder_z
      - .offset:         112
        .size:           8
        .value_kind:     hidden_global_offset_x
      - .offset:         120
        .size:           8
        .value_kind:     hidden_global_offset_y
      - .offset:         128
        .size:           8
        .value_kind:     hidden_global_offset_z
      - .offset:         136
        .size:           2
        .value_kind:     hidden_grid_dims
    .group_segment_fixed_size: 0
    .kernarg_segment_align: 8
    .kernarg_segment_size: 328
    .language:       OpenCL C
    .language_version:
      - 2
      - 0
    .max_flat_workgroup_size: 1024
    .name:           _Z9ccc_loop1PKiS0_PKdS2_S2_S2_PdiiPi
    .private_segment_fixed_size: 0
    .sgpr_count:     18
    .sgpr_spill_count: 0
    .symbol:         _Z9ccc_loop1PKiS0_PKdS2_S2_S2_PdiiPi.kd
    .uniform_work_group_size: 1
    .uses_dynamic_stack: false
    .vgpr_count:     14
    .vgpr_spill_count: 0
    .wavefront_size: 64
  - .agpr_count:     0
    .args:
      - .actual_access:  read_only
        .address_space:  global
        .offset:         0
        .size:           8
        .value_kind:     global_buffer
      - .actual_access:  read_only
        .address_space:  global
        .offset:         8
        .size:           8
        .value_kind:     global_buffer
      - .actual_access:  read_only
        .address_space:  global
        .offset:         16
        .size:           8
        .value_kind:     global_buffer
      - .actual_access:  write_only
        .address_space:  global
        .offset:         24
        .size:           8
        .value_kind:     global_buffer
      - .actual_access:  read_only
        .address_space:  global
        .offset:         32
        .size:           8
        .value_kind:     global_buffer
      - .offset:         40
        .size:           4
        .value_kind:     by_value
      - .actual_access:  read_only
        .address_space:  global
        .offset:         48
        .size:           8
        .value_kind:     global_buffer
      - .actual_access:  read_only
        .address_space:  global
        .offset:         56
        .size:           8
        .value_kind:     global_buffer
      - .offset:         64
        .size:           4
        .value_kind:     by_value
      - .offset:         68
        .size:           4
        .value_kind:     by_value
      - .offset:         72
        .size:           4
        .value_kind:     hidden_block_count_x
      - .offset:         76
        .size:           4
        .value_kind:     hidden_block_count_y
      - .offset:         80
        .size:           4
        .value_kind:     hidden_block_count_z
      - .offset:         84
        .size:           2
        .value_kind:     hidden_group_size_x
      - .offset:         86
        .size:           2
        .value_kind:     hidden_group_size_y
      - .offset:         88
        .size:           2
        .value_kind:     hidden_group_size_z
      - .offset:         90
        .size:           2
        .value_kind:     hidden_remainder_x
      - .offset:         92
        .size:           2
        .value_kind:     hidden_remainder_y
      - .offset:         94
        .size:           2
        .value_kind:     hidden_remainder_z
      - .offset:         112
        .size:           8
        .value_kind:     hidden_global_offset_x
      - .offset:         120
        .size:           8
        .value_kind:     hidden_global_offset_y
      - .offset:         128
        .size:           8
        .value_kind:     hidden_global_offset_z
      - .offset:         136
        .size:           2
        .value_kind:     hidden_grid_dims
    .group_segment_fixed_size: 0
    .kernarg_segment_align: 8
    .kernarg_segment_size: 328
    .language:       OpenCL C
    .language_version:
      - 2
      - 0
    .max_flat_workgroup_size: 1024
    .name:           _Z11ccc_loop1_2PKdS0_S0_PdPKiiS3_S3_ii
    .private_segment_fixed_size: 0
    .sgpr_count:     18
    .sgpr_spill_count: 0
    .symbol:         _Z11ccc_loop1_2PKdS0_S0_PdPKiiS3_S3_ii.kd
    .uniform_work_group_size: 1
    .uses_dynamic_stack: false
    .vgpr_count:     14
    .vgpr_spill_count: 0
    .wavefront_size: 64
  - .agpr_count:     0
    .args:
      - .actual_access:  read_only
        .address_space:  global
        .offset:         0
        .size:           8
        .value_kind:     global_buffer
      - .actual_access:  read_only
        .address_space:  global
        .offset:         8
        .size:           8
        .value_kind:     global_buffer
      - .actual_access:  read_only
        .address_space:  global
        .offset:         16
        .size:           8
        .value_kind:     global_buffer
      - .actual_access:  read_only
        .address_space:  global
        .offset:         24
        .size:           8
        .value_kind:     global_buffer
      - .actual_access:  read_only
        .address_space:  global
        .offset:         32
        .size:           8
        .value_kind:     global_buffer
      - .actual_access:  read_only
        .address_space:  global
        .offset:         40
        .size:           8
        .value_kind:     global_buffer
      - .actual_access:  read_only
        .address_space:  global
        .offset:         48
        .size:           8
        .value_kind:     global_buffer
      - .actual_access:  read_only
        .address_space:  global
        .offset:         56
        .size:           8
        .value_kind:     global_buffer
      - .actual_access:  read_only
        .address_space:  global
        .offset:         64
        .size:           8
        .value_kind:     global_buffer
      - .actual_access:  write_only
        .address_space:  global
        .offset:         72
        .size:           8
        .value_kind:     global_buffer
      - .actual_access:  read_only
        .address_space:  global
        .offset:         80
        .size:           8
        .value_kind:     global_buffer
      - .offset:         88
        .size:           4
        .value_kind:     by_value
      - .offset:         92
        .size:           4
        .value_kind:     by_value
      - .actual_access:  read_only
        .address_space:  global
        .offset:         96
        .size:           8
        .value_kind:     global_buffer
      - .offset:         104
        .size:           4
        .value_kind:     hidden_block_count_x
      - .offset:         108
        .size:           4
        .value_kind:     hidden_block_count_y
      - .offset:         112
        .size:           4
        .value_kind:     hidden_block_count_z
      - .offset:         116
        .size:           2
        .value_kind:     hidden_group_size_x
      - .offset:         118
        .size:           2
        .value_kind:     hidden_group_size_y
      - .offset:         120
        .size:           2
        .value_kind:     hidden_group_size_z
      - .offset:         122
        .size:           2
        .value_kind:     hidden_remainder_x
      - .offset:         124
        .size:           2
        .value_kind:     hidden_remainder_y
      - .offset:         126
        .size:           2
        .value_kind:     hidden_remainder_z
      - .offset:         144
        .size:           8
        .value_kind:     hidden_global_offset_x
      - .offset:         152
        .size:           8
        .value_kind:     hidden_global_offset_y
      - .offset:         160
        .size:           8
        .value_kind:     hidden_global_offset_z
      - .offset:         168
        .size:           2
        .value_kind:     hidden_grid_dims
    .group_segment_fixed_size: 0
    .kernarg_segment_align: 8
    .kernarg_segment_size: 360
    .language:       OpenCL C
    .language_version:
      - 2
      - 0
    .max_flat_workgroup_size: 1024
    .name:           _Z9ccc_loop2PKiS0_S0_PKdS2_S2_S2_S2_S2_PdS3_iiPi
    .private_segment_fixed_size: 0
    .sgpr_count:     16
    .sgpr_spill_count: 0
    .symbol:         _Z9ccc_loop2PKiS0_S0_PKdS2_S2_S2_S2_S2_PdS3_iiPi.kd
    .uniform_work_group_size: 1
    .uses_dynamic_stack: false
    .vgpr_count:     8
    .vgpr_spill_count: 0
    .wavefront_size: 64
  - .agpr_count:     0
    .args:
      - .actual_access:  read_only
        .address_space:  global
        .offset:         0
        .size:           8
        .value_kind:     global_buffer
      - .actual_access:  read_only
        .address_space:  global
        .offset:         8
        .size:           8
        .value_kind:     global_buffer
      - .actual_access:  read_only
        .address_space:  global
        .offset:         16
        .size:           8
        .value_kind:     global_buffer
      - .actual_access:  read_only
        .address_space:  global
        .offset:         24
        .size:           8
        .value_kind:     global_buffer
      - .actual_access:  read_only
        .address_space:  global
        .offset:         32
        .size:           8
        .value_kind:     global_buffer
      - .actual_access:  write_only
        .address_space:  global
        .offset:         40
        .size:           8
        .value_kind:     global_buffer
      - .actual_access:  read_only
        .address_space:  global
        .offset:         48
        .size:           8
        .value_kind:     global_buffer
      - .offset:         56
        .size:           4
        .value_kind:     by_value
      - .offset:         64
        .size:           4
        .value_kind:     hidden_block_count_x
      - .offset:         68
        .size:           4
        .value_kind:     hidden_block_count_y
      - .offset:         72
        .size:           4
        .value_kind:     hidden_block_count_z
      - .offset:         76
        .size:           2
        .value_kind:     hidden_group_size_x
      - .offset:         78
        .size:           2
        .value_kind:     hidden_group_size_y
      - .offset:         80
        .size:           2
        .value_kind:     hidden_group_size_z
      - .offset:         82
        .size:           2
        .value_kind:     hidden_remainder_x
      - .offset:         84
        .size:           2
        .value_kind:     hidden_remainder_y
      - .offset:         86
        .size:           2
        .value_kind:     hidden_remainder_z
      - .offset:         104
        .size:           8
        .value_kind:     hidden_global_offset_x
      - .offset:         112
        .size:           8
        .value_kind:     hidden_global_offset_y
      - .offset:         120
        .size:           8
        .value_kind:     hidden_global_offset_z
      - .offset:         128
        .size:           2
        .value_kind:     hidden_grid_dims
    .group_segment_fixed_size: 0
    .kernarg_segment_align: 8
    .kernarg_segment_size: 320
    .language:       OpenCL C
    .language_version:
      - 2
      - 0
    .max_flat_workgroup_size: 1024
    .name:           _Z11ccc_loop2_2PKiPKdS2_S2_S2_PdPii
    .private_segment_fixed_size: 0
    .sgpr_count:     18
    .sgpr_spill_count: 0
    .symbol:         _Z11ccc_loop2_2PKiPKdS2_S2_S2_PdPii.kd
    .uniform_work_group_size: 1
    .uses_dynamic_stack: false
    .vgpr_count:     14
    .vgpr_spill_count: 0
    .wavefront_size: 64
  - .agpr_count:     0
    .args:
      - .actual_access:  read_only
        .address_space:  global
        .offset:         0
        .size:           8
        .value_kind:     global_buffer
      - .actual_access:  read_only
        .address_space:  global
        .offset:         8
        .size:           8
        .value_kind:     global_buffer
      - .actual_access:  read_only
        .address_space:  global
        .offset:         16
        .size:           8
        .value_kind:     global_buffer
      - .actual_access:  read_only
        .address_space:  global
        .offset:         24
        .size:           8
        .value_kind:     global_buffer
      - .actual_access:  read_only
        .address_space:  global
        .offset:         32
        .size:           8
        .value_kind:     global_buffer
      - .actual_access:  write_only
        .address_space:  global
        .offset:         40
        .size:           8
        .value_kind:     global_buffer
      - .actual_access:  write_only
        .address_space:  global
        .offset:         48
        .size:           8
        .value_kind:     global_buffer
      - .actual_access:  read_only
        .address_space:  global
        .offset:         56
        .size:           8
        .value_kind:     global_buffer
      - .actual_access:  read_only
        .address_space:  global
        .offset:         64
        .size:           8
        .value_kind:     global_buffer
      - .offset:         72
        .size:           4
        .value_kind:     by_value
      - .offset:         76
        .size:           4
        .value_kind:     by_value
      - .actual_access:  read_only
        .address_space:  global
        .offset:         80
        .size:           8
        .value_kind:     global_buffer
      - .offset:         88
        .size:           4
        .value_kind:     hidden_block_count_x
      - .offset:         92
        .size:           4
        .value_kind:     hidden_block_count_y
      - .offset:         96
        .size:           4
        .value_kind:     hidden_block_count_z
      - .offset:         100
        .size:           2
        .value_kind:     hidden_group_size_x
      - .offset:         102
        .size:           2
        .value_kind:     hidden_group_size_y
      - .offset:         104
        .size:           2
        .value_kind:     hidden_group_size_z
      - .offset:         106
        .size:           2
        .value_kind:     hidden_remainder_x
      - .offset:         108
        .size:           2
        .value_kind:     hidden_remainder_y
      - .offset:         110
        .size:           2
        .value_kind:     hidden_remainder_z
      - .offset:         128
        .size:           8
        .value_kind:     hidden_global_offset_x
      - .offset:         136
        .size:           8
        .value_kind:     hidden_global_offset_y
      - .offset:         144
        .size:           8
        .value_kind:     hidden_global_offset_z
      - .offset:         152
        .size:           2
        .value_kind:     hidden_grid_dims
    .group_segment_fixed_size: 0
    .kernarg_segment_align: 8
    .kernarg_segment_size: 344
    .language:       OpenCL C
    .language_version:
      - 2
      - 0
    .max_flat_workgroup_size: 1024
    .name:           _Z9ccc_loop3PKiS0_S0_PKdS2_PdS3_S2_S2_iiPi
    .private_segment_fixed_size: 0
    .sgpr_count:     48
    .sgpr_spill_count: 0
    .symbol:         _Z9ccc_loop3PKiS0_S0_PKdS2_PdS3_S2_S2_iiPi.kd
    .uniform_work_group_size: 1
    .uses_dynamic_stack: false
    .vgpr_count:     92
    .vgpr_spill_count: 0
    .wavefront_size: 64
amdhsa.target:   amdgcn-amd-amdhsa--gfx950
amdhsa.version:
  - 1
  - 2
...

	.end_amdgpu_metadata
